;; amdgpu-corpus repo=ROCm/rocFFT kind=compiled arch=gfx1030 opt=O3
	.text
	.amdgcn_target "amdgcn-amd-amdhsa--gfx1030"
	.amdhsa_code_object_version 6
	.protected	fft_rtc_fwd_len1352_factors_2_13_13_4_wgs_52_tpt_52_halfLds_sp_op_CI_CI_unitstride_sbrr_R2C_dirReg ; -- Begin function fft_rtc_fwd_len1352_factors_2_13_13_4_wgs_52_tpt_52_halfLds_sp_op_CI_CI_unitstride_sbrr_R2C_dirReg
	.globl	fft_rtc_fwd_len1352_factors_2_13_13_4_wgs_52_tpt_52_halfLds_sp_op_CI_CI_unitstride_sbrr_R2C_dirReg
	.p2align	8
	.type	fft_rtc_fwd_len1352_factors_2_13_13_4_wgs_52_tpt_52_halfLds_sp_op_CI_CI_unitstride_sbrr_R2C_dirReg,@function
fft_rtc_fwd_len1352_factors_2_13_13_4_wgs_52_tpt_52_halfLds_sp_op_CI_CI_unitstride_sbrr_R2C_dirReg: ; @fft_rtc_fwd_len1352_factors_2_13_13_4_wgs_52_tpt_52_halfLds_sp_op_CI_CI_unitstride_sbrr_R2C_dirReg
; %bb.0:
	s_clause 0x2
	s_load_dwordx4 s[12:15], s[4:5], 0x0
	s_load_dwordx4 s[8:11], s[4:5], 0x58
	;; [unrolled: 1-line block ×3, first 2 shown]
	v_mul_u32_u24_e32 v1, 0x4ed, v0
	v_mov_b32_e32 v3, 0
	v_add_nc_u32_sdwa v5, s6, v1 dst_sel:DWORD dst_unused:UNUSED_PAD src0_sel:DWORD src1_sel:WORD_1
	v_mov_b32_e32 v1, 0
	v_mov_b32_e32 v6, v3
	v_mov_b32_e32 v2, 0
	s_waitcnt lgkmcnt(0)
	v_cmp_lt_u64_e64 s0, s[14:15], 2
	s_and_b32 vcc_lo, exec_lo, s0
	s_cbranch_vccnz .LBB0_8
; %bb.1:
	s_load_dwordx2 s[0:1], s[4:5], 0x10
	v_mov_b32_e32 v1, 0
	v_mov_b32_e32 v2, 0
	s_add_u32 s2, s18, 8
	s_addc_u32 s3, s19, 0
	s_add_u32 s6, s16, 8
	s_addc_u32 s7, s17, 0
	v_mov_b32_e32 v39, v2
	v_mov_b32_e32 v38, v1
	s_mov_b64 s[22:23], 1
	s_waitcnt lgkmcnt(0)
	s_add_u32 s20, s0, 8
	s_addc_u32 s21, s1, 0
.LBB0_2:                                ; =>This Inner Loop Header: Depth=1
	s_load_dwordx2 s[24:25], s[20:21], 0x0
                                        ; implicit-def: $vgpr42_vgpr43
	s_mov_b32 s0, exec_lo
	s_waitcnt lgkmcnt(0)
	v_or_b32_e32 v4, s25, v6
	v_cmpx_ne_u64_e32 0, v[3:4]
	s_xor_b32 s1, exec_lo, s0
	s_cbranch_execz .LBB0_4
; %bb.3:                                ;   in Loop: Header=BB0_2 Depth=1
	v_cvt_f32_u32_e32 v4, s24
	v_cvt_f32_u32_e32 v7, s25
	s_sub_u32 s0, 0, s24
	s_subb_u32 s26, 0, s25
	v_fmac_f32_e32 v4, 0x4f800000, v7
	v_rcp_f32_e32 v4, v4
	v_mul_f32_e32 v4, 0x5f7ffffc, v4
	v_mul_f32_e32 v7, 0x2f800000, v4
	v_trunc_f32_e32 v7, v7
	v_fmac_f32_e32 v4, 0xcf800000, v7
	v_cvt_u32_f32_e32 v7, v7
	v_cvt_u32_f32_e32 v4, v4
	v_mul_lo_u32 v8, s0, v7
	v_mul_hi_u32 v9, s0, v4
	v_mul_lo_u32 v10, s26, v4
	v_add_nc_u32_e32 v8, v9, v8
	v_mul_lo_u32 v9, s0, v4
	v_add_nc_u32_e32 v8, v8, v10
	v_mul_hi_u32 v10, v4, v9
	v_mul_lo_u32 v11, v4, v8
	v_mul_hi_u32 v12, v4, v8
	v_mul_hi_u32 v13, v7, v9
	v_mul_lo_u32 v9, v7, v9
	v_mul_hi_u32 v14, v7, v8
	v_mul_lo_u32 v8, v7, v8
	v_add_co_u32 v10, vcc_lo, v10, v11
	v_add_co_ci_u32_e32 v11, vcc_lo, 0, v12, vcc_lo
	v_add_co_u32 v9, vcc_lo, v10, v9
	v_add_co_ci_u32_e32 v9, vcc_lo, v11, v13, vcc_lo
	v_add_co_ci_u32_e32 v10, vcc_lo, 0, v14, vcc_lo
	v_add_co_u32 v8, vcc_lo, v9, v8
	v_add_co_ci_u32_e32 v9, vcc_lo, 0, v10, vcc_lo
	v_add_co_u32 v4, vcc_lo, v4, v8
	v_add_co_ci_u32_e32 v7, vcc_lo, v7, v9, vcc_lo
	v_mul_hi_u32 v8, s0, v4
	v_mul_lo_u32 v10, s26, v4
	v_mul_lo_u32 v9, s0, v7
	v_add_nc_u32_e32 v8, v8, v9
	v_mul_lo_u32 v9, s0, v4
	v_add_nc_u32_e32 v8, v8, v10
	v_mul_hi_u32 v10, v4, v9
	v_mul_lo_u32 v11, v4, v8
	v_mul_hi_u32 v12, v4, v8
	v_mul_hi_u32 v13, v7, v9
	v_mul_lo_u32 v9, v7, v9
	v_mul_hi_u32 v14, v7, v8
	v_mul_lo_u32 v8, v7, v8
	v_add_co_u32 v10, vcc_lo, v10, v11
	v_add_co_ci_u32_e32 v11, vcc_lo, 0, v12, vcc_lo
	v_add_co_u32 v9, vcc_lo, v10, v9
	v_add_co_ci_u32_e32 v9, vcc_lo, v11, v13, vcc_lo
	v_add_co_ci_u32_e32 v10, vcc_lo, 0, v14, vcc_lo
	v_add_co_u32 v8, vcc_lo, v9, v8
	v_add_co_ci_u32_e32 v9, vcc_lo, 0, v10, vcc_lo
	v_add_co_u32 v4, vcc_lo, v4, v8
	v_add_co_ci_u32_e32 v11, vcc_lo, v7, v9, vcc_lo
	v_mul_hi_u32 v13, v5, v4
	v_mad_u64_u32 v[9:10], null, v6, v4, 0
	v_mad_u64_u32 v[7:8], null, v5, v11, 0
	;; [unrolled: 1-line block ×3, first 2 shown]
	v_add_co_u32 v4, vcc_lo, v13, v7
	v_add_co_ci_u32_e32 v7, vcc_lo, 0, v8, vcc_lo
	v_add_co_u32 v4, vcc_lo, v4, v9
	v_add_co_ci_u32_e32 v4, vcc_lo, v7, v10, vcc_lo
	v_add_co_ci_u32_e32 v7, vcc_lo, 0, v12, vcc_lo
	v_add_co_u32 v4, vcc_lo, v4, v11
	v_add_co_ci_u32_e32 v9, vcc_lo, 0, v7, vcc_lo
	v_mul_lo_u32 v10, s25, v4
	v_mad_u64_u32 v[7:8], null, s24, v4, 0
	v_mul_lo_u32 v11, s24, v9
	v_sub_co_u32 v7, vcc_lo, v5, v7
	v_add3_u32 v8, v8, v11, v10
	v_sub_nc_u32_e32 v10, v6, v8
	v_subrev_co_ci_u32_e64 v10, s0, s25, v10, vcc_lo
	v_add_co_u32 v11, s0, v4, 2
	v_add_co_ci_u32_e64 v12, s0, 0, v9, s0
	v_sub_co_u32 v13, s0, v7, s24
	v_sub_co_ci_u32_e32 v8, vcc_lo, v6, v8, vcc_lo
	v_subrev_co_ci_u32_e64 v10, s0, 0, v10, s0
	v_cmp_le_u32_e32 vcc_lo, s24, v13
	v_cmp_eq_u32_e64 s0, s25, v8
	v_cndmask_b32_e64 v13, 0, -1, vcc_lo
	v_cmp_le_u32_e32 vcc_lo, s25, v10
	v_cndmask_b32_e64 v14, 0, -1, vcc_lo
	v_cmp_le_u32_e32 vcc_lo, s24, v7
	;; [unrolled: 2-line block ×3, first 2 shown]
	v_cndmask_b32_e64 v15, 0, -1, vcc_lo
	v_cmp_eq_u32_e32 vcc_lo, s25, v10
	v_cndmask_b32_e64 v7, v15, v7, s0
	v_cndmask_b32_e32 v10, v14, v13, vcc_lo
	v_add_co_u32 v13, vcc_lo, v4, 1
	v_add_co_ci_u32_e32 v14, vcc_lo, 0, v9, vcc_lo
	v_cmp_ne_u32_e32 vcc_lo, 0, v10
	v_cndmask_b32_e32 v8, v14, v12, vcc_lo
	v_cndmask_b32_e32 v10, v13, v11, vcc_lo
	v_cmp_ne_u32_e32 vcc_lo, 0, v7
	v_cndmask_b32_e32 v43, v9, v8, vcc_lo
	v_cndmask_b32_e32 v42, v4, v10, vcc_lo
.LBB0_4:                                ;   in Loop: Header=BB0_2 Depth=1
	s_andn2_saveexec_b32 s0, s1
	s_cbranch_execz .LBB0_6
; %bb.5:                                ;   in Loop: Header=BB0_2 Depth=1
	v_cvt_f32_u32_e32 v4, s24
	s_sub_i32 s1, 0, s24
	v_mov_b32_e32 v43, v3
	v_rcp_iflag_f32_e32 v4, v4
	v_mul_f32_e32 v4, 0x4f7ffffe, v4
	v_cvt_u32_f32_e32 v4, v4
	v_mul_lo_u32 v7, s1, v4
	v_mul_hi_u32 v7, v4, v7
	v_add_nc_u32_e32 v4, v4, v7
	v_mul_hi_u32 v4, v5, v4
	v_mul_lo_u32 v7, v4, s24
	v_add_nc_u32_e32 v8, 1, v4
	v_sub_nc_u32_e32 v7, v5, v7
	v_subrev_nc_u32_e32 v9, s24, v7
	v_cmp_le_u32_e32 vcc_lo, s24, v7
	v_cndmask_b32_e32 v7, v7, v9, vcc_lo
	v_cndmask_b32_e32 v4, v4, v8, vcc_lo
	v_cmp_le_u32_e32 vcc_lo, s24, v7
	v_add_nc_u32_e32 v8, 1, v4
	v_cndmask_b32_e32 v42, v4, v8, vcc_lo
.LBB0_6:                                ;   in Loop: Header=BB0_2 Depth=1
	s_or_b32 exec_lo, exec_lo, s0
	v_mul_lo_u32 v4, v43, s24
	v_mul_lo_u32 v9, v42, s25
	s_load_dwordx2 s[0:1], s[6:7], 0x0
	v_mad_u64_u32 v[7:8], null, v42, s24, 0
	s_load_dwordx2 s[24:25], s[2:3], 0x0
	s_add_u32 s22, s22, 1
	s_addc_u32 s23, s23, 0
	s_add_u32 s2, s2, 8
	s_addc_u32 s3, s3, 0
	s_add_u32 s6, s6, 8
	v_add3_u32 v4, v8, v9, v4
	v_sub_co_u32 v5, vcc_lo, v5, v7
	s_addc_u32 s7, s7, 0
	s_add_u32 s20, s20, 8
	v_sub_co_ci_u32_e32 v4, vcc_lo, v6, v4, vcc_lo
	s_addc_u32 s21, s21, 0
	s_waitcnt lgkmcnt(0)
	v_mul_lo_u32 v6, s0, v4
	v_mul_lo_u32 v7, s1, v5
	v_mad_u64_u32 v[1:2], null, s0, v5, v[1:2]
	v_mul_lo_u32 v4, s24, v4
	v_mul_lo_u32 v8, s25, v5
	v_mad_u64_u32 v[38:39], null, s24, v5, v[38:39]
	v_cmp_ge_u64_e64 s0, s[22:23], s[14:15]
	v_add3_u32 v2, v7, v2, v6
	v_add3_u32 v39, v8, v39, v4
	s_and_b32 vcc_lo, exec_lo, s0
	s_cbranch_vccnz .LBB0_9
; %bb.7:                                ;   in Loop: Header=BB0_2 Depth=1
	v_mov_b32_e32 v5, v42
	v_mov_b32_e32 v6, v43
	s_branch .LBB0_2
.LBB0_8:
	v_mov_b32_e32 v39, v2
	v_mov_b32_e32 v43, v6
	;; [unrolled: 1-line block ×4, first 2 shown]
.LBB0_9:
	s_load_dwordx2 s[0:1], s[4:5], 0x28
	v_mul_hi_u32 v3, 0x4ec4ec5, v0
	s_lshl_b64 s[4:5], s[14:15], 3
                                        ; implicit-def: $vgpr36
                                        ; implicit-def: $vgpr40
                                        ; implicit-def: $vgpr51
                                        ; implicit-def: $vgpr50
                                        ; implicit-def: $vgpr49
                                        ; implicit-def: $vgpr48
                                        ; implicit-def: $vgpr47
                                        ; implicit-def: $vgpr46
                                        ; implicit-def: $vgpr45
                                        ; implicit-def: $vgpr44
	s_add_u32 s2, s18, s4
	s_addc_u32 s3, s19, s5
	s_waitcnt lgkmcnt(0)
	v_cmp_gt_u64_e32 vcc_lo, s[0:1], v[42:43]
	v_cmp_le_u64_e64 s0, s[0:1], v[42:43]
	s_and_saveexec_b32 s1, s0
	s_xor_b32 s0, exec_lo, s1
; %bb.10:
	v_mul_u32_u24_e32 v1, 52, v3
                                        ; implicit-def: $vgpr3
	v_sub_nc_u32_e32 v36, v0, v1
                                        ; implicit-def: $vgpr0
                                        ; implicit-def: $vgpr1_vgpr2
	v_add_nc_u32_e32 v40, 52, v36
	v_add_nc_u32_e32 v51, 0x68, v36
	;; [unrolled: 1-line block ×9, first 2 shown]
; %bb.11:
	s_andn2_saveexec_b32 s1, s0
	s_cbranch_execz .LBB0_13
; %bb.12:
	s_add_u32 s4, s16, s4
	s_addc_u32 s5, s17, s5
	v_lshlrev_b64 v[1:2], 3, v[1:2]
	s_load_dwordx2 s[4:5], s[4:5], 0x0
	s_waitcnt lgkmcnt(0)
	v_mul_lo_u32 v6, s5, v42
	v_mul_lo_u32 v7, s4, v43
	v_mad_u64_u32 v[4:5], null, s4, v42, 0
	v_add3_u32 v5, v5, v7, v6
	v_mul_u32_u24_e32 v6, 52, v3
	v_lshlrev_b64 v[3:4], 3, v[4:5]
	v_sub_nc_u32_e32 v36, v0, v6
	v_lshlrev_b32_e32 v37, 3, v36
	v_add_co_u32 v0, s0, s8, v3
	v_add_co_ci_u32_e64 v3, s0, s9, v4, s0
	v_add_nc_u32_e32 v40, 52, v36
	v_add_co_u32 v4, s0, v0, v1
	v_add_co_ci_u32_e64 v3, s0, v3, v2, s0
	v_or_b32_e32 v2, 0x1a00, v37
	v_add_co_u32 v0, s0, v4, v37
	v_add_co_ci_u32_e64 v1, s0, 0, v3, s0
	v_add_co_u32 v2, s0, v4, v2
	v_add_co_ci_u32_e64 v3, s0, 0, v3, s0
	;; [unrolled: 2-line block ×7, first 2 shown]
	s_clause 0x19
	global_load_dwordx2 v[4:5], v[0:1], off
	global_load_dwordx2 v[6:7], v[0:1], off offset:416
	global_load_dwordx2 v[8:9], v[0:1], off offset:832
	;; [unrolled: 1-line block ×17, first 2 shown]
	global_load_dwordx2 v[2:3], v[2:3], off
	global_load_dwordx2 v[16:17], v[16:17], off offset:1760
	global_load_dwordx2 v[60:61], v[18:19], off offset:128
	;; [unrolled: 1-line block ×7, first 2 shown]
	v_add_nc_u32_e32 v37, 0, v37
	v_add_nc_u32_e32 v51, 0x68, v36
	;; [unrolled: 1-line block ×16, first 2 shown]
	s_waitcnt vmcnt(24)
	ds_write2_b64 v37, v[4:5], v[6:7] offset1:52
	s_waitcnt vmcnt(22)
	ds_write2_b64 v37, v[8:9], v[10:11] offset0:104 offset1:156
	s_waitcnt vmcnt(20)
	ds_write2_b64 v41, v[0:1], v[22:23] offset0:80 offset1:132
	;; [unrolled: 2-line block ×12, first 2 shown]
.LBB0_13:
	s_or_b32 exec_lo, exec_lo, s1
	v_lshl_add_u32 v74, v36, 3, 0
	s_load_dwordx2 s[2:3], s[2:3], 0x0
	s_waitcnt lgkmcnt(0)
	s_barrier
	buffer_gl0_inv
	v_add_nc_u32_e32 v37, 0x1000, v74
	v_add_nc_u32_e32 v8, 0x1400, v74
	;; [unrolled: 1-line block ×4, first 2 shown]
	ds_read2_b64 v[0:3], v74 offset1:52
	ds_read2_b64 v[4:7], v37 offset0:112 offset1:164
	ds_read2_b64 v[8:11], v8 offset0:88 offset1:140
	;; [unrolled: 1-line block ×3, first 2 shown]
	v_add_nc_u32_e32 v28, 0x2400, v74
	v_add_nc_u32_e32 v58, 0x800, v74
	;; [unrolled: 1-line block ×3, first 2 shown]
	ds_read2_b64 v[16:19], v41 offset0:64 offset1:116
	ds_read2_b64 v[20:23], v20 offset0:80 offset1:132
	;; [unrolled: 1-line block ×9, first 2 shown]
	v_lshl_add_u32 v56, v36, 4, 0
	s_waitcnt lgkmcnt(0)
	s_barrier
	buffer_gl0_inv
	v_lshl_add_u32 v57, v40, 4, 0
	v_lshl_add_u32 v72, v51, 4, 0
	;; [unrolled: 1-line block ×5, first 2 shown]
	v_lshlrev_b32_e32 v81, 3, v45
	v_lshlrev_b32_e32 v82, 3, v44
	;; [unrolled: 1-line block ×3, first 2 shown]
	v_lshl_add_u32 v80, v40, 3, 0
	v_sub_f32_e32 v6, v0, v6
	v_sub_f32_e32 v7, v1, v7
	;; [unrolled: 1-line block ×5, first 2 shown]
	v_fma_f32 v0, v0, 2.0, -v6
	v_fma_f32 v1, v1, 2.0, -v7
	v_sub_f32_e32 v11, v13, v11
	v_fma_f32 v2, v2, 2.0, -v8
	v_fma_f32 v3, v3, 2.0, -v9
	;; [unrolled: 1-line block ×3, first 2 shown]
	ds_write2_b64 v56, v[0:1], v[6:7] offset1:1
	v_sub_f32_e32 v0, v14, v16
	v_sub_f32_e32 v1, v15, v17
	v_fma_f32 v13, v13, 2.0, -v11
	ds_write2_b64 v57, v[2:3], v[8:9] offset1:1
	ds_write2_b64 v72, v[12:13], v[10:11] offset1:1
	v_sub_f32_e32 v2, v20, v18
	v_fma_f32 v6, v14, 2.0, -v0
	v_fma_f32 v7, v15, 2.0, -v1
	v_sub_f32_e32 v3, v21, v19
	v_lshl_add_u32 v12, v50, 4, 0
	v_sub_f32_e32 v10, v22, v24
	v_sub_f32_e32 v11, v23, v25
	v_fma_f32 v8, v20, 2.0, -v2
	v_fma_f32 v9, v21, 2.0, -v3
	v_lshl_add_u32 v13, v49, 4, 0
	ds_write2_b64 v12, v[6:7], v[0:1] offset1:1
	v_fma_f32 v0, v22, 2.0, -v10
	v_fma_f32 v1, v23, 2.0, -v11
	v_lshl_add_u32 v7, v48, 4, 0
	ds_write2_b64 v13, v[8:9], v[2:3] offset1:1
	v_sub_f32_e32 v2, v32, v26
	v_sub_f32_e32 v3, v33, v27
	;; [unrolled: 1-line block ×3, first 2 shown]
	ds_write2_b64 v7, v[0:1], v[10:11] offset1:1
	v_sub_f32_e32 v10, v60, v54
	v_sub_f32_e32 v7, v35, v53
	v_fma_f32 v0, v32, 2.0, -v2
	v_fma_f32 v1, v33, 2.0, -v3
	;; [unrolled: 1-line block ×4, first 2 shown]
	v_lshl_add_u32 v60, v47, 4, 0
	v_fma_f32 v9, v35, 2.0, -v7
	v_add_nc_u32_e32 v26, 0x16c0, v56
	v_sub_f32_e32 v11, v61, v55
	v_sub_f32_e32 v12, v62, v64
	;; [unrolled: 1-line block ×3, first 2 shown]
	ds_write2_b64 v60, v[0:1], v[2:3] offset1:1
	ds_write2_b64 v26, v[8:9], v[6:7] offset1:1
	v_and_b32_e32 v26, 1, v36
	v_sub_f32_e32 v18, v68, v66
	v_sub_f32_e32 v19, v69, v67
	;; [unrolled: 1-line block ×4, first 2 shown]
	v_fma_f32 v15, v61, 2.0, -v11
	v_fma_f32 v16, v62, 2.0, -v12
	;; [unrolled: 1-line block ×3, first 2 shown]
	v_sub_f32_e32 v22, v4, v30
	v_sub_f32_e32 v23, v5, v31
	v_add_nc_u32_e32 v0, 0x1d40, v56
	v_mul_u32_u24_e32 v2, 12, v26
	v_fma_f32 v24, v68, 2.0, -v18
	v_fma_f32 v25, v69, 2.0, -v19
	;; [unrolled: 1-line block ×4, first 2 shown]
	v_add_nc_u32_e32 v1, 0x23c0, v56
	v_fma_f32 v4, v4, 2.0, -v22
	v_fma_f32 v5, v5, 2.0, -v23
	ds_write2_b64 v75, v[14:15], v[10:11] offset1:1
	ds_write2_b64 v0, v[16:17], v[12:13] offset1:1
	ds_write2_b64 v77, v[24:25], v[18:19] offset1:1
	ds_write2_b64 v1, v[27:28], v[20:21] offset1:1
	v_lshlrev_b32_e32 v16, 3, v2
	v_lshrrev_b32_e32 v24, 1, v36
	ds_write2_b64 v76, v[4:5], v[22:23] offset1:1
	s_waitcnt lgkmcnt(0)
	s_barrier
	buffer_gl0_inv
	s_clause 0x5
	global_load_dwordx4 v[4:7], v16, s[12:13] offset:80
	global_load_dwordx4 v[0:3], v16, s[12:13] offset:64
	;; [unrolled: 1-line block ×5, first 2 shown]
	global_load_dwordx4 v[16:19], v16, s[12:13]
	v_mul_u32_u24_e32 v24, 26, v24
	v_lshlrev_b32_e32 v61, 3, v47
	v_add_nc_u32_e32 v84, 0x1c00, v74
	v_lshl_add_u32 v78, v49, 3, 0
	v_lshl_add_u32 v79, v51, 3, 0
	v_or_b32_e32 v24, v24, v26
	v_sub_nc_u32_e32 v54, v77, v81
	v_sub_nc_u32_e32 v57, v76, v82
	v_add_nc_u32_e32 v56, 0xc00, v74
	v_sub_nc_u32_e32 v55, v60, v61
	v_sub_nc_u32_e32 v62, v75, v83
	v_lshl_add_u32 v27, v24, 3, 0
	ds_read2_b64 v[30:33], v59 offset0:172 offset1:224
	ds_read2_b64 v[63:66], v59 offset0:68 offset1:120
	ds_read_b64 v[24:25], v80
	ds_read_b64 v[34:35], v74 offset:10400
	ds_read2_b64 v[67:70], v84 offset0:92 offset1:144
	ds_read2_b64 v[85:88], v41 offset0:116 offset1:168
	;; [unrolled: 1-line block ×4, first 2 shown]
	ds_read_b64 v[52:53], v57
	ds_read2_b64 v[97:100], v56 offset0:84 offset1:188
	ds_read_b64 v[71:72], v55
	ds_read_b64 v[109:110], v54
	;; [unrolled: 1-line block ×3, first 2 shown]
	ds_read2_b64 v[101:104], v58 offset0:4 offset1:108
	ds_read_b64 v[113:114], v78
	ds_read_b64 v[115:116], v79
	ds_read2_b64 v[105:108], v74 offset1:156
	s_waitcnt vmcnt(0) lgkmcnt(0)
	s_barrier
	buffer_gl0_inv
	v_cmp_gt_u32_e64 s0, 26, v36
	v_mul_f32_e32 v73, v33, v7
	v_mul_f32_e32 v118, v31, v5
	;; [unrolled: 1-line block ×27, first 2 shown]
	v_fma_f32 v73, v32, v6, -v73
	v_mul_f32_e32 v32, v104, v21
	v_mul_f32_e32 v21, v103, v21
	v_fma_f32 v11, v34, v6, -v121
	v_fmac_f32_e32 v5, v35, v6
	v_mul_f32_e32 v34, v17, v116
	v_mul_f32_e32 v35, v17, v115
	;; [unrolled: 1-line block ×7, first 2 shown]
	v_fmac_f32_e32 v117, v33, v6
	v_fma_f32 v30, v30, v4, -v118
	v_fmac_f32_e32 v28, v31, v4
	v_mul_f32_e32 v31, v112, v23
	v_mul_f32_e32 v118, v111, v23
	;; [unrolled: 1-line block ×4, first 2 shown]
	v_fma_f32 v119, v65, v4, -v119
	v_fmac_f32_e32 v120, v66, v4
	v_mul_f32_e32 v65, v19, v114
	v_mul_f32_e32 v66, v19, v113
	v_fma_f32 v6, v67, v0, -v124
	v_fmac_f32_e32 v7, v68, v0
	v_mul_f32_e32 v67, v108, v17
	v_fma_f32 v87, v87, v0, -v126
	v_fmac_f32_e32 v127, v88, v0
	v_fma_f32 v0, v89, v12, -v130
	v_fmac_f32_e32 v1, v90, v12
	v_fma_f32 v4, v85, v14, -v131
	v_fma_f32 v85, v95, v12, -v132
	v_fmac_f32_e32 v133, v96, v12
	v_fma_f32 v90, v71, v20, -v141
	v_fmac_f32_e32 v142, v72, v20
	;; [unrolled: 2-line block ×4, first 2 shown]
	v_mul_f32_e32 v19, v107, v17
	v_fma_f32 v17, v63, v2, -v125
	v_fma_f32 v88, v91, v14, -v128
	v_fmac_f32_e32 v129, v92, v14
	v_fmac_f32_e32 v15, v86, v14
	v_fma_f32 v14, v101, v18, -v33
	v_fmac_f32_e32 v23, v102, v18
	v_fma_f32 v63, v18, v113, -v65
	;; [unrolled: 2-line block ×3, first 2 shown]
	v_add_f32_e32 v67, v20, v105
	v_add_f32_e32 v68, v35, v106
	v_mul_f32_e32 v135, v110, v9
	v_mul_f32_e32 v136, v109, v9
	v_mul_f32_e32 v139, v100, v9
	v_mul_f32_e32 v9, v99, v9
	v_fma_f32 v121, v69, v2, -v122
	v_add_f32_e32 v124, v67, v63
	v_add_f32_e32 v125, v68, v66
	v_fmac_f32_e32 v123, v70, v2
	v_fmac_f32_e32 v29, v64, v2
	v_fma_f32 v2, v93, v10, -v134
	v_fmac_f32_e32 v3, v94, v10
	v_fma_f32 v86, v109, v8, -v135
	;; [unrolled: 2-line block ×5, first 2 shown]
	v_fma_f32 v91, v111, v22, -v31
	v_fmac_f32_e32 v118, v112, v22
	v_sub_f32_e32 v64, v35, v117
	v_add_f32_e32 v92, v20, v73
	v_sub_f32_e32 v65, v20, v73
	v_add_f32_e32 v20, v90, v121
	v_sub_f32_e32 v97, v90, v121
	v_add_f32_e32 v90, v124, v90
	v_add_f32_e32 v125, v125, v142
	v_fmac_f32_e32 v13, v98, v22
	v_fmac_f32_e32 v19, v108, v16
	v_add_f32_e32 v93, v35, v117
	v_sub_f32_e32 v95, v63, v119
	v_sub_f32_e32 v98, v118, v127
	v_add_f32_e32 v34, v118, v127
	v_mul_f32_e32 v104, 0xbeedf032, v64
	v_mul_f32_e32 v107, 0xbf52af12, v64
	;; [unrolled: 1-line block ×7, first 2 shown]
	v_add_f32_e32 v90, v90, v91
	v_add_f32_e32 v118, v125, v118
	v_sub_f32_e32 v94, v66, v120
	v_add_f32_e32 v31, v66, v120
	v_add_f32_e32 v33, v86, v88
	v_sub_f32_e32 v101, v86, v88
	v_mul_f32_e32 v113, 0xbf52af12, v65
	v_mul_f32_e32 v72, 0xbf52af12, v95
	v_fma_f32 v134, 0x3f62ad3f, v92, -v104
	v_fmac_f32_e32 v104, 0x3f62ad3f, v92
	v_fma_f32 v135, 0x3f116cb1, v92, -v107
	v_fmac_f32_e32 v107, 0x3f116cb1, v92
	;; [unrolled: 2-line block ×6, first 2 shown]
	v_fmamk_f32 v92, v93, 0x3f62ad3f, v112
	v_add_f32_e32 v86, v90, v86
	v_add_f32_e32 v118, v118, v136
	;; [unrolled: 1-line block ×3, first 2 shown]
	v_sub_f32_e32 v96, v142, v123
	v_add_f32_e32 v16, v91, v87
	v_sub_f32_e32 v99, v91, v87
	v_mul_f32_e32 v71, 0xbf52af12, v94
	v_mul_f32_e32 v126, 0xbf6f5d39, v94
	;; [unrolled: 1-line block ×3, first 2 shown]
	v_fmamk_f32 v143, v93, 0x3f116cb1, v113
	v_add_f32_e32 v92, v92, v106
	v_fmamk_f32 v91, v31, 0x3f116cb1, v72
	v_add_f32_e32 v86, v86, v89
	v_add_f32_e32 v118, v118, v138
	;; [unrolled: 1-line block ×4, first 2 shown]
	v_sub_f32_e32 v102, v89, v85
	v_mul_f32_e32 v69, 0xbf7e222b, v96
	v_mul_f32_e32 v70, 0xbf7e222b, v97
	;; [unrolled: 1-line block ×3, first 2 shown]
	v_add_f32_e32 v134, v134, v105
	v_add_f32_e32 v135, v135, v105
	;; [unrolled: 1-line block ×3, first 2 shown]
	v_fma_f32 v149, 0x3f116cb1, v32, -v71
	v_add_f32_e32 v91, v91, v92
	v_fma_f32 v92, 0xbeb58ec6, v32, -v126
	v_fmamk_f32 v90, v31, 0xbeb58ec6, v128
	v_add_f32_e32 v85, v86, v85
	v_add_f32_e32 v118, v118, v133
	v_sub_f32_e32 v100, v136, v129
	v_mul_f32_e32 v114, 0xbf7e222b, v65
	v_mul_f32_e32 v115, 0xbf6f5d39, v65
	;; [unrolled: 1-line block ×7, first 2 shown]
	v_add_f32_e32 v134, v149, v134
	v_add_f32_e32 v92, v92, v135
	v_fma_f32 v135, 0x3df6dbef, v20, -v69
	v_add_f32_e32 v90, v90, v143
	v_fmamk_f32 v143, v22, 0x3df6dbef, v70
	v_fmamk_f32 v89, v22, 0xbf788fa5, v131
	v_add_f32_e32 v85, v85, v88
	v_add_f32_e32 v118, v118, v129
	v_sub_f32_e32 v103, v138, v133
	v_add_f32_e32 v52, v138, v133
	v_add_f32_e32 v53, v136, v129
	v_mul_f32_e32 v64, 0xbf29c268, v100
	v_mul_f32_e32 v66, 0xbf29c268, v101
	;; [unrolled: 1-line block ×3, first 2 shown]
	v_fma_f32 v112, 0x3f62ad3f, v93, -v112
	v_fma_f32 v113, 0x3f116cb1, v93, -v113
	v_fmamk_f32 v144, v93, 0x3df6dbef, v114
	v_fma_f32 v114, 0x3df6dbef, v93, -v114
	v_fmamk_f32 v145, v93, 0xbeb58ec6, v115
	;; [unrolled: 2-line block ×4, first 2 shown]
	v_fma_f32 v93, 0xbf788fa5, v93, -v122
	v_mul_f32_e32 v142, 0xbe750f2a, v94
	v_add_f32_e32 v134, v135, v134
	v_add_f32_e32 v91, v143, v91
	v_fma_f32 v143, 0xbf788fa5, v20, -v130
	v_fma_f32 v138, 0xbeb58ec6, v16, -v67
	v_add_f32_e32 v89, v89, v90
	v_fmamk_f32 v90, v34, 0xbeb58ec6, v68
	v_add_f32_e32 v85, v85, v87
	v_add_f32_e32 v87, v118, v127
	v_mul_f32_e32 v63, 0xbe750f2a, v103
	v_mul_f32_e32 v65, 0xbe750f2a, v102
	;; [unrolled: 1-line block ×3, first 2 shown]
	v_add_f32_e32 v112, v112, v106
	v_add_f32_e32 v113, v113, v106
	;; [unrolled: 1-line block ×11, first 2 shown]
	v_mul_f32_e32 v106, 0x3f7e222b, v100
	v_mul_f32_e32 v125, 0xbe750f2a, v95
	;; [unrolled: 1-line block ×3, first 2 shown]
	v_fma_f32 v136, 0xbf788fa5, v32, -v142
	v_add_f32_e32 v92, v143, v92
	v_add_f32_e32 v134, v138, v134
	v_fma_f32 v138, 0xbf3f9e67, v33, -v64
	v_fmamk_f32 v86, v53, 0xbf3f9e67, v66
	v_add_f32_e32 v90, v90, v91
	v_fma_f32 v91, 0xbf3f9e67, v16, -v132
	v_add_f32_e32 v85, v85, v121
	v_add_f32_e32 v87, v87, v123
	;; [unrolled: 1-line block ×11, first 2 shown]
	v_mul_f32_e32 v111, 0x3f7e222b, v101
	v_mul_f32_e32 v148, 0x3eedf032, v103
	v_add_f32_e32 v136, v136, v137
	v_mul_f32_e32 v137, 0x3f6f5d39, v97
	v_mul_f32_e32 v135, 0x3eedf032, v98
	v_fma_f32 v133, 0xbf788fa5, v35, -v63
	v_fmamk_f32 v88, v52, 0xbf788fa5, v65
	v_fmamk_f32 v129, v34, 0xbf3f9e67, v122
	v_add_f32_e32 v91, v91, v92
	v_fma_f32 v92, 0x3df6dbef, v33, -v106
	v_add_f32_e32 v127, v138, v134
	v_fmamk_f32 v134, v31, 0xbf788fa5, v125
	v_fma_f32 v121, 0xbeb58ec6, v20, -v149
	v_add_f32_e32 v86, v86, v90
	v_add_f32_e32 v119, v85, v119
	;; [unrolled: 1-line block ×3, first 2 shown]
	v_mul_f32_e32 v124, 0x3eedf032, v102
	v_mul_f32_e32 v143, 0x3eedf032, v99
	v_fmamk_f32 v150, v53, 0x3df6dbef, v111
	v_fma_f32 v118, 0x3f62ad3f, v35, -v148
	v_fmamk_f32 v123, v22, 0xbeb58ec6, v137
	v_fma_f32 v90, 0x3f62ad3f, v16, -v135
	v_add_f32_e32 v89, v129, v89
	v_add_f32_e32 v85, v133, v127
	;; [unrolled: 1-line block ×8, first 2 shown]
	v_mul_f32_e32 v117, 0xbf52af12, v100
	v_add_f32_e32 v89, v150, v89
	ds_write2_b64 v27, v[87:88], v[85:86] offset1:2
	v_add_f32_e32 v85, v118, v91
	v_add_f32_e32 v73, v123, v73
	;; [unrolled: 1-line block ×3, first 2 shown]
	v_fmamk_f32 v87, v34, 0x3f62ad3f, v143
	v_fma_f32 v88, 0x3f116cb1, v33, -v117
	v_mul_f32_e32 v91, 0xbf52af12, v101
	v_mul_f32_e32 v92, 0xbf29c268, v103
	v_fmamk_f32 v90, v52, 0x3f62ad3f, v124
	v_add_f32_e32 v73, v87, v73
	v_add_f32_e32 v87, v88, v86
	v_fmamk_f32 v88, v53, 0x3f116cb1, v91
	v_fma_f32 v118, 0xbf3f9e67, v35, -v92
	v_add_f32_e32 v86, v90, v89
	v_mul_f32_e32 v89, 0x3f29c268, v94
	v_mul_f32_e32 v90, 0x3f29c268, v95
	v_add_f32_e32 v73, v88, v73
	v_add_f32_e32 v87, v118, v87
	v_mul_f32_e32 v118, 0xbf29c268, v102
	v_fma_f32 v88, 0xbf3f9e67, v32, -v89
	v_fmamk_f32 v119, v31, 0xbf3f9e67, v90
	v_mul_f32_e32 v120, 0x3eedf032, v96
	v_mul_f32_e32 v121, 0x3eedf032, v97
	v_fmamk_f32 v123, v52, 0xbf3f9e67, v118
	v_add_f32_e32 v127, v88, v139
	v_add_f32_e32 v119, v119, v145
	v_fma_f32 v129, 0x3f62ad3f, v20, -v120
	v_fmamk_f32 v133, v22, 0x3f62ad3f, v121
	v_mul_f32_e32 v134, 0xbf7e222b, v98
	v_mul_f32_e32 v136, 0xbf7e222b, v99
	v_add_f32_e32 v88, v123, v73
	v_add_f32_e32 v73, v129, v127
	;; [unrolled: 1-line block ×3, first 2 shown]
	v_fma_f32 v123, 0x3df6dbef, v16, -v134
	v_fmamk_f32 v127, v34, 0x3df6dbef, v136
	v_mul_f32_e32 v129, 0x3e750f2a, v100
	v_mul_f32_e32 v133, 0x3e750f2a, v101
	ds_write2_b64 v27, v[85:86], v[87:88] offset0:4 offset1:6
	v_add_f32_e32 v73, v123, v73
	v_add_f32_e32 v85, v127, v119
	v_fma_f32 v86, 0xbf788fa5, v33, -v129
	v_fmamk_f32 v87, v53, 0xbf788fa5, v133
	v_mul_f32_e32 v119, 0x3f52af12, v103
	v_mul_f32_e32 v123, 0x3f52af12, v102
	;; [unrolled: 1-line block ×3, first 2 shown]
	v_add_f32_e32 v73, v86, v73
	v_add_f32_e32 v86, v87, v85
	v_fma_f32 v85, 0x3f116cb1, v35, -v119
	v_fmamk_f32 v87, v52, 0x3f116cb1, v123
	v_fma_f32 v88, 0x3df6dbef, v32, -v127
	v_mul_f32_e32 v138, 0x3f7e222b, v95
	v_mul_f32_e32 v139, 0xbf52af12, v96
	v_add_f32_e32 v85, v85, v73
	v_add_f32_e32 v86, v87, v86
	;; [unrolled: 1-line block ×3, first 2 shown]
	v_fmamk_f32 v87, v31, 0x3df6dbef, v138
	v_fma_f32 v88, 0x3f116cb1, v20, -v139
	v_mul_f32_e32 v140, 0xbf52af12, v97
	v_mul_f32_e32 v144, 0x3e750f2a, v98
	;; [unrolled: 1-line block ×3, first 2 shown]
	v_add_f32_e32 v87, v87, v146
	v_add_f32_e32 v73, v88, v73
	v_fmamk_f32 v88, v22, 0x3f116cb1, v140
	v_fma_f32 v145, 0xbf788fa5, v16, -v144
	v_mul_f32_e32 v146, 0x3e750f2a, v99
	v_mul_f32_e32 v151, 0xbf6f5d39, v103
	;; [unrolled: 1-line block ×3, first 2 shown]
	v_add_f32_e32 v87, v88, v87
	v_add_f32_e32 v73, v145, v73
	v_fmamk_f32 v88, v34, 0xbf788fa5, v146
	v_mul_f32_e32 v145, 0x3eedf032, v100
	v_mul_f32_e32 v100, 0xbf6f5d39, v100
	v_fmac_f32_e32 v89, 0xbf3f9e67, v32
	v_fma_f32 v90, 0xbf3f9e67, v31, -v90
	v_add_f32_e32 v87, v88, v87
	v_fma_f32 v88, 0x3f62ad3f, v33, -v145
	v_fmac_f32_e32 v120, 0x3f62ad3f, v20
	v_add_f32_e32 v89, v89, v109
	v_add_f32_e32 v90, v90, v115
	v_fmac_f32_e32 v134, 0x3df6dbef, v16
	v_add_f32_e32 v73, v88, v73
	v_fmamk_f32 v88, v53, 0x3f62ad3f, v150
	v_add_f32_e32 v89, v120, v89
	v_fmac_f32_e32 v129, 0xbf788fa5, v33
	v_fmac_f32_e32 v127, 0x3df6dbef, v32
	;; [unrolled: 1-line block ×3, first 2 shown]
	v_add_f32_e32 v88, v88, v87
	v_fma_f32 v87, 0xbeb58ec6, v35, -v151
	v_add_f32_e32 v89, v134, v89
	v_fmac_f32_e32 v119, 0x3f116cb1, v35
	v_fmac_f32_e32 v144, 0xbf788fa5, v16
	;; [unrolled: 1-line block ×3, first 2 shown]
	v_add_f32_e32 v87, v87, v73
	v_mul_f32_e32 v73, 0xbf6f5d39, v102
	v_fmac_f32_e32 v130, 0xbf788fa5, v20
	v_fmac_f32_e32 v132, 0xbf3f9e67, v16
	;; [unrolled: 1-line block ×4, first 2 shown]
	v_fmamk_f32 v152, v52, 0xbeb58ec6, v73
	v_fma_f32 v73, 0xbeb58ec6, v52, -v73
	v_fmac_f32_e32 v142, 0xbf788fa5, v32
	v_fma_f32 v91, 0x3f116cb1, v53, -v91
	v_fmac_f32_e32 v71, 0x3f116cb1, v32
	v_add_f32_e32 v88, v152, v88
	v_fmac_f32_e32 v149, 0xbeb58ec6, v20
	v_fmac_f32_e32 v69, 0x3df6dbef, v20
	;; [unrolled: 1-line block ×3, first 2 shown]
	v_add_f32_e32 v71, v71, v104
	ds_write2_b64 v27, v[85:86], v[87:88] offset0:8 offset1:10
	v_mul_f32_e32 v85, 0x3eedf032, v94
	v_mul_f32_e32 v87, 0x3eedf032, v95
	;; [unrolled: 1-line block ×5, first 2 shown]
	v_fma_f32 v86, 0x3f62ad3f, v32, -v85
	v_fmamk_f32 v94, v31, 0x3f62ad3f, v87
	v_fma_f32 v95, 0xbf3f9e67, v20, -v88
	v_mul_f32_e32 v98, 0x3f52af12, v99
	v_fma_f32 v99, 0x3f116cb1, v16, -v97
	v_add_f32_e32 v86, v86, v141
	v_add_f32_e32 v94, v94, v147
	v_fmac_f32_e32 v85, 0x3f62ad3f, v32
	v_fma_f32 v87, 0x3f62ad3f, v31, -v87
	v_fmac_f32_e32 v88, 0xbf3f9e67, v20
	v_add_f32_e32 v86, v95, v86
	v_fmamk_f32 v95, v22, 0xbf3f9e67, v96
	v_add_f32_e32 v85, v85, v105
	v_add_f32_e32 v87, v87, v93
	v_fma_f32 v93, 0xbf3f9e67, v22, -v96
	v_add_f32_e32 v86, v99, v86
	v_add_f32_e32 v94, v95, v94
	v_fmamk_f32 v95, v34, 0x3f116cb1, v98
	v_fma_f32 v99, 0xbeb58ec6, v33, -v100
	v_add_f32_e32 v88, v88, v85
	v_fmac_f32_e32 v97, 0x3f116cb1, v16
	v_mul_f32_e32 v96, 0x3f7e222b, v102
	v_add_f32_e32 v94, v95, v94
	v_add_f32_e32 v86, v99, v86
	v_fmamk_f32 v95, v53, 0xbeb58ec6, v101
	v_mul_f32_e32 v99, 0x3f7e222b, v103
	v_add_f32_e32 v88, v97, v88
	v_fmac_f32_e32 v100, 0xbeb58ec6, v33
	v_fma_f32 v97, 0x3f62ad3f, v22, -v121
	v_add_f32_e32 v94, v95, v94
	v_fma_f32 v95, 0x3df6dbef, v35, -v99
	v_fmac_f32_e32 v99, 0x3df6dbef, v35
	v_add_f32_e32 v88, v100, v88
	v_add_f32_e32 v90, v97, v90
	v_fma_f32 v97, 0x3f62ad3f, v52, -v124
	v_add_f32_e32 v85, v95, v86
	v_add_f32_e32 v86, v93, v87
	v_fma_f32 v87, 0x3f116cb1, v34, -v98
	v_fmamk_f32 v93, v52, 0x3df6dbef, v96
	v_fma_f32 v96, 0x3df6dbef, v52, -v96
	v_add_f32_e32 v32, v19, v25
	v_fma_f32 v20, 0x3df6dbef, v22, -v70
	v_add_f32_e32 v86, v87, v86
	v_fma_f32 v87, 0xbeb58ec6, v53, -v101
	v_fmac_f32_e32 v67, 0xbeb58ec6, v16
	v_add_f32_e32 v32, v32, v23
	v_fma_f32 v16, 0xbeb58ec6, v34, -v68
	v_fmac_f32_e32 v145, 0x3f62ad3f, v33
	v_add_f32_e32 v95, v87, v86
	v_add_f32_e32 v86, v93, v94
	;; [unrolled: 1-line block ×3, first 2 shown]
	v_fma_f32 v93, 0x3df6dbef, v34, -v136
	v_add_f32_e32 v94, v142, v108
	v_add_f32_e32 v88, v96, v95
	v_fma_f32 v95, 0xbf788fa5, v31, -v125
	v_fma_f32 v96, 0xbeb58ec6, v22, -v137
	v_add_f32_e32 v69, v69, v71
	v_add_f32_e32 v94, v149, v94
	ds_write2_b64 v27, v[85:86], v[87:88] offset0:12 offset1:14
	v_fma_f32 v85, 0x3df6dbef, v31, -v138
	v_add_f32_e32 v86, v93, v90
	v_add_f32_e32 v87, v129, v89
	v_fma_f32 v88, 0xbf788fa5, v53, -v133
	v_add_f32_e32 v89, v127, v110
	v_add_f32_e32 v85, v85, v116
	v_fma_f32 v90, 0x3f116cb1, v22, -v140
	v_fma_f32 v93, 0xbf788fa5, v34, -v146
	v_add_f32_e32 v86, v88, v86
	v_fma_f32 v88, 0x3f116cb1, v52, -v123
	v_add_f32_e32 v89, v139, v89
	v_add_f32_e32 v90, v90, v85
	;; [unrolled: 1-line block ×7, first 2 shown]
	v_fma_f32 v89, 0x3f62ad3f, v53, -v150
	v_fma_f32 v93, 0xbeb58ec6, v31, -v128
	v_add_f32_e32 v90, v126, v107
	v_add_f32_e32 v95, v96, v95
	v_fma_f32 v96, 0x3f62ad3f, v34, -v143
	v_add_f32_e32 v88, v89, v88
	v_add_f32_e32 v89, v93, v113
	v_fma_f32 v93, 0xbf788fa5, v22, -v131
	v_add_f32_e32 v90, v130, v90
	v_fma_f32 v31, 0x3f116cb1, v31, -v72
	v_add_f32_e32 v88, v73, v88
	v_add_f32_e32 v73, v96, v95
	;; [unrolled: 1-line block ×3, first 2 shown]
	v_fma_f32 v93, 0xbf3f9e67, v34, -v122
	v_add_f32_e32 v90, v132, v90
	v_add_f32_e32 v31, v31, v112
	;; [unrolled: 1-line block ×5, first 2 shown]
	v_fma_f32 v93, 0x3df6dbef, v53, -v111
	v_add_f32_e32 v90, v106, v90
	v_add_f32_e32 v20, v20, v31
	;; [unrolled: 1-line block ×8, first 2 shown]
	v_fmac_f32_e32 v117, 0x3f116cb1, v33
	v_add_f32_e32 v90, v97, v93
	v_add_f32_e32 v93, v18, v24
	;; [unrolled: 1-line block ×4, first 2 shown]
	v_fmac_f32_e32 v151, 0xbeb58ec6, v35
	v_add_f32_e32 v34, v67, v69
	v_add_f32_e32 v93, v93, v14
	v_fmac_f32_e32 v64, 0xbf3f9e67, v33
	v_fma_f32 v33, 0xbf3f9e67, v53, -v66
	v_add_f32_e32 v20, v20, v1
	v_add_f32_e32 v94, v117, v94
	v_add_f32_e32 v73, v93, v12
	v_fmac_f32_e32 v92, 0xbf3f9e67, v35
	v_add_f32_e32 v87, v151, v87
	v_add_f32_e32 v34, v64, v34
	;; [unrolled: 1-line block ×4, first 2 shown]
	v_fmac_f32_e32 v63, 0xbf788fa5, v35
	v_fma_f32 v35, 0xbf788fa5, v52, -v65
	v_add_f32_e32 v20, v20, v15
	v_add_f32_e32 v66, v19, v5
	;; [unrolled: 1-line block ×3, first 2 shown]
	v_fma_f32 v32, 0xbf3f9e67, v52, -v118
	v_add_f32_e32 v33, v63, v34
	v_add_f32_e32 v34, v35, v16
	;; [unrolled: 1-line block ×6, first 2 shown]
	v_sub_f32_e32 v52, v23, v28
	v_sub_f32_e32 v64, v12, v17
	v_add_f32_e32 v22, v31, v0
	v_add_f32_e32 v31, v92, v94
	ds_write2_b64 v27, v[87:88], v[85:86] offset0:16 offset1:18
	ds_write2_b64 v27, v[31:32], v[89:90] offset0:20 offset1:22
	v_add_f32_e32 v22, v22, v4
	v_sub_f32_e32 v32, v18, v11
	v_sub_f32_e32 v31, v19, v5
	v_mul_f32_e32 v68, 0xbf52af12, v52
	v_sub_f32_e32 v63, v21, v29
	v_add_f32_e32 v22, v22, v6
	v_mul_f32_e32 v67, 0xbeedf032, v32
	v_mul_f32_e32 v65, 0xbeedf032, v31
	;; [unrolled: 1-line block ×3, first 2 shown]
	v_add_f32_e32 v12, v12, v17
	v_add_f32_e32 v20, v22, v17
	v_add_f32_e32 v22, v16, v29
	v_add_f32_e32 v16, v14, v30
	v_fmamk_f32 v19, v66, 0x3f62ad3f, v67
	v_fma_f32 v18, 0x3f62ad3f, v35, -v65
	v_add_f32_e32 v20, v20, v30
	v_sub_f32_e32 v30, v14, v30
	v_add_f32_e32 v14, v23, v28
	v_add_f32_e32 v19, v19, v25
	;; [unrolled: 1-line block ×3, first 2 shown]
	v_fma_f32 v53, 0x3f116cb1, v16, -v68
	v_mul_f32_e32 v69, 0xbf52af12, v30
	v_add_f32_e32 v18, v21, v29
	v_mul_f32_e32 v17, 0xbf7e222b, v63
	v_sub_f32_e32 v73, v10, v4
	v_add_f32_e32 v21, v53, v23
	v_fmamk_f32 v70, v14, 0x3f116cb1, v69
	v_sub_f32_e32 v23, v13, v7
	v_fmamk_f32 v53, v18, 0x3df6dbef, v71
	v_add_f32_e32 v7, v13, v7
	v_fma_f32 v29, 0x3df6dbef, v12, -v17
	v_add_f32_e32 v19, v70, v19
	v_sub_f32_e32 v70, v8, v6
	v_add_f32_e32 v6, v8, v6
	v_mul_f32_e32 v72, 0xbf6f5d39, v23
	v_add_f32_e32 v21, v29, v21
	v_add_f32_e32 v19, v53, v19
	v_mul_f32_e32 v13, 0xbf6f5d39, v70
	v_sub_f32_e32 v53, v9, v15
	v_fma_f32 v29, 0xbeb58ec6, v6, -v72
	v_add_f32_e32 v8, v9, v15
	v_add_f32_e32 v9, v10, v4
	v_fmamk_f32 v85, v7, 0xbeb58ec6, v13
	v_mul_f32_e32 v15, 0xbf29c268, v53
	v_add_f32_e32 v4, v22, v28
	v_add_f32_e32 v21, v29, v21
	;; [unrolled: 1-line block ×4, first 2 shown]
	v_sub_f32_e32 v85, v3, v1
	v_fma_f32 v22, 0xbf3f9e67, v9, -v15
	v_add_f32_e32 v11, v4, v5
	v_add_f32_e32 v5, v2, v0
	v_mul_f32_e32 v87, 0xbf52af12, v31
	v_mul_f32_e32 v4, 0xbe750f2a, v85
	;; [unrolled: 1-line block ×3, first 2 shown]
	v_add_f32_e32 v20, v22, v21
	v_add_f32_e32 v1, v3, v1
	v_sub_f32_e32 v0, v2, v0
	v_fma_f32 v2, 0xbf788fa5, v5, -v4
	v_fma_f32 v3, 0x3f116cb1, v35, -v87
	v_mul_f32_e32 v89, 0xbf6f5d39, v52
	v_fmamk_f32 v21, v66, 0x3f116cb1, v88
	v_mul_f32_e32 v90, 0xbf6f5d39, v30
	v_mul_f32_e32 v86, 0xbf29c268, v73
	v_add_f32_e32 v2, v2, v20
	v_add_f32_e32 v3, v3, v24
	v_fma_f32 v20, 0xbeb58ec6, v16, -v89
	v_add_f32_e32 v21, v21, v25
	v_fmamk_f32 v22, v14, 0xbeb58ec6, v90
	v_mul_f32_e32 v91, 0xbe750f2a, v63
	v_mul_f32_e32 v92, 0xbe750f2a, v64
	v_fmamk_f32 v28, v8, 0xbf3f9e67, v86
	v_mul_f32_e32 v93, 0xbe750f2a, v0
	v_add_f32_e32 v3, v20, v3
	v_add_f32_e32 v20, v22, v21
	v_fma_f32 v21, 0xbf788fa5, v12, -v91
	v_fmamk_f32 v22, v18, 0xbf788fa5, v92
	v_mul_f32_e32 v94, 0x3f29c268, v23
	v_mul_f32_e32 v95, 0x3f29c268, v70
	v_add_f32_e32 v19, v28, v19
	v_fmamk_f32 v28, v1, 0xbf788fa5, v93
	v_add_f32_e32 v21, v21, v3
	v_add_f32_e32 v20, v22, v20
	v_fma_f32 v22, 0xbf3f9e67, v6, -v94
	v_mul_f32_e32 v96, 0x3f7e222b, v53
	v_fmamk_f32 v29, v7, 0xbf3f9e67, v95
	v_mul_f32_e32 v97, 0x3f7e222b, v73
	v_add_f32_e32 v3, v28, v19
	v_add_f32_e32 v19, v22, v21
	v_fma_f32 v21, 0x3df6dbef, v9, -v96
	v_add_f32_e32 v20, v29, v20
	v_fmamk_f32 v22, v8, 0x3df6dbef, v97
	v_mul_f32_e32 v98, 0x3eedf032, v85
	v_mul_f32_e32 v99, 0xbf7e222b, v31
	;; [unrolled: 1-line block ×3, first 2 shown]
	v_add_f32_e32 v19, v21, v19
	v_add_f32_e32 v20, v22, v20
	v_fma_f32 v21, 0x3f62ad3f, v5, -v98
	v_fma_f32 v22, 0x3df6dbef, v35, -v99
	v_mul_f32_e32 v101, 0xbe750f2a, v52
	v_fmamk_f32 v28, v66, 0x3df6dbef, v100
	v_mul_f32_e32 v102, 0xbe750f2a, v30
	v_add_f32_e32 v19, v21, v19
	v_add_f32_e32 v21, v22, v24
	v_fma_f32 v22, 0xbf788fa5, v16, -v101
	v_add_f32_e32 v28, v28, v25
	v_fmamk_f32 v29, v14, 0xbf788fa5, v102
	v_mul_f32_e32 v103, 0x3f6f5d39, v63
	v_mul_f32_e32 v104, 0x3f6f5d39, v64
	;; [unrolled: 1-line block ×3, first 2 shown]
	v_add_f32_e32 v21, v22, v21
	v_add_f32_e32 v22, v29, v28
	v_fma_f32 v28, 0xbeb58ec6, v12, -v103
	v_fmamk_f32 v29, v18, 0xbeb58ec6, v104
	v_mul_f32_e32 v106, 0x3eedf032, v23
	v_mul_f32_e32 v108, 0x3eedf032, v70
	v_fmamk_f32 v107, v1, 0x3f62ad3f, v105
	v_add_f32_e32 v21, v28, v21
	v_add_f32_e32 v22, v29, v22
	v_fma_f32 v28, 0x3f62ad3f, v6, -v106
	v_mul_f32_e32 v109, 0xbf52af12, v53
	v_fmamk_f32 v29, v7, 0x3f62ad3f, v108
	v_mul_f32_e32 v110, 0xbf52af12, v73
	v_add_f32_e32 v20, v107, v20
	v_add_f32_e32 v21, v28, v21
	v_fma_f32 v28, 0x3f116cb1, v9, -v109
	v_add_f32_e32 v22, v29, v22
	v_fmamk_f32 v29, v8, 0x3f116cb1, v110
	v_mul_f32_e32 v107, 0xbf29c268, v85
	v_mul_f32_e32 v111, 0xbf6f5d39, v31
	v_mul_f32_e32 v112, 0xbf6f5d39, v32
	v_add_f32_e32 v21, v28, v21
	v_add_f32_e32 v22, v29, v22
	v_fma_f32 v28, 0xbf3f9e67, v5, -v107
	v_fma_f32 v29, 0xbeb58ec6, v35, -v111
	v_mul_f32_e32 v113, 0x3f29c268, v52
	v_fmamk_f32 v114, v66, 0xbeb58ec6, v112
	v_mul_f32_e32 v115, 0x3f29c268, v30
	v_add_f32_e32 v21, v28, v21
	v_add_f32_e32 v28, v29, v24
	v_fma_f32 v29, 0xbf3f9e67, v16, -v113
	v_add_f32_e32 v114, v114, v25
	v_fmamk_f32 v116, v14, 0xbf3f9e67, v115
	v_mul_f32_e32 v117, 0x3eedf032, v63
	v_mul_f32_e32 v120, 0xbf7e222b, v23
	v_add_f32_e32 v28, v29, v28
	v_mul_f32_e32 v123, 0x3e750f2a, v53
	v_add_f32_e32 v29, v116, v114
	v_fma_f32 v114, 0x3f62ad3f, v12, -v117
	v_mul_f32_e32 v126, 0xbf29c268, v31
	v_mul_f32_e32 v128, 0x3f7e222b, v52
	;; [unrolled: 1-line block ×4, first 2 shown]
	v_add_f32_e32 v28, v114, v28
	v_fma_f32 v114, 0x3df6dbef, v6, -v120
	v_fma_f32 v127, 0xbf3f9e67, v35, -v126
	;; [unrolled: 1-line block ×3, first 2 shown]
	v_mul_f32_e32 v119, 0xbf29c268, v0
	v_fmamk_f32 v116, v18, 0x3f62ad3f, v118
	v_add_f32_e32 v28, v114, v28
	v_fma_f32 v114, 0xbf788fa5, v9, -v123
	v_add_f32_e32 v127, v127, v24
	v_mul_f32_e32 v121, 0xbf7e222b, v70
	v_mul_f32_e32 v131, 0x3f7e222b, v30
	;; [unrolled: 1-line block ×3, first 2 shown]
	v_add_f32_e32 v28, v114, v28
	v_mul_f32_e32 v114, 0xbf29c268, v32
	v_add_f32_e32 v127, v132, v127
	v_fma_f32 v132, 0x3f116cb1, v12, -v133
	v_fmamk_f32 v122, v1, 0xbf3f9e67, v119
	v_add_f32_e32 v29, v116, v29
	v_fmamk_f32 v130, v66, 0xbf3f9e67, v114
	v_fmamk_f32 v116, v7, 0x3df6dbef, v121
	v_mul_f32_e32 v124, 0x3e750f2a, v73
	v_fmamk_f32 v134, v14, 0x3df6dbef, v131
	v_mul_f32_e32 v135, 0xbf52af12, v64
	v_add_f32_e32 v130, v130, v25
	v_add_f32_e32 v127, v132, v127
	v_fma_f32 v132, 0xbf788fa5, v6, -v136
	v_mul_f32_e32 v138, 0x3eedf032, v53
	v_add_f32_e32 v22, v122, v22
	v_add_f32_e32 v29, v116, v29
	v_fmamk_f32 v116, v8, 0xbf788fa5, v124
	v_mul_f32_e32 v122, 0x3f52af12, v85
	v_add_f32_e32 v130, v134, v130
	v_fmamk_f32 v134, v18, 0x3f116cb1, v135
	v_mul_f32_e32 v137, 0x3e750f2a, v70
	v_add_f32_e32 v127, v132, v127
	v_fma_f32 v132, 0x3f62ad3f, v9, -v138
	v_mul_f32_e32 v125, 0x3f52af12, v0
	v_add_f32_e32 v29, v116, v29
	v_fma_f32 v116, 0x3f116cb1, v5, -v122
	v_add_f32_e32 v130, v134, v130
	v_fmamk_f32 v134, v7, 0xbf788fa5, v137
	v_add_f32_e32 v127, v132, v127
	v_mul_f32_e32 v132, 0xbe750f2a, v31
	v_mul_f32_e32 v32, 0xbe750f2a, v32
	v_fmamk_f32 v129, v1, 0x3f116cb1, v125
	v_mul_f32_e32 v139, 0x3eedf032, v73
	v_add_f32_e32 v28, v116, v28
	v_add_f32_e32 v116, v134, v130
	v_fma_f32 v134, 0xbf788fa5, v35, -v132
	v_mul_f32_e32 v52, 0x3eedf032, v52
	v_fmamk_f32 v141, v66, 0xbf788fa5, v32
	v_mul_f32_e32 v142, 0x3eedf032, v30
	v_fmamk_f32 v130, v8, 0x3f62ad3f, v139
	v_add_f32_e32 v29, v129, v29
	v_mul_f32_e32 v129, 0xbf6f5d39, v85
	v_add_f32_e32 v30, v134, v24
	v_fma_f32 v134, 0x3f62ad3f, v16, -v52
	v_mul_f32_e32 v63, 0xbf29c268, v63
	v_add_f32_e32 v141, v141, v25
	v_fmamk_f32 v143, v14, 0x3f62ad3f, v142
	v_mul_f32_e32 v64, 0xbf29c268, v64
	v_fmac_f32_e32 v132, 0xbf788fa5, v35
	v_add_f32_e32 v31, v130, v116
	v_fma_f32 v130, 0xbeb58ec6, v5, -v129
	v_add_f32_e32 v30, v134, v30
	v_fma_f32 v134, 0xbf3f9e67, v12, -v63
	v_add_f32_e32 v141, v143, v141
	v_fmamk_f32 v143, v18, 0xbf3f9e67, v64
	v_fma_f32 v32, 0xbf788fa5, v66, -v32
	v_add_f32_e32 v132, v132, v24
	v_fmac_f32_e32 v52, 0x3f62ad3f, v16
	v_add_f32_e32 v134, v134, v30
	v_add_f32_e32 v30, v130, v127
	;; [unrolled: 1-line block ×4, first 2 shown]
	v_fma_f32 v141, 0x3f62ad3f, v14, -v142
	v_add_f32_e32 v52, v52, v132
	v_fmac_f32_e32 v63, 0xbf3f9e67, v12
	v_mul_f32_e32 v23, 0x3f52af12, v23
	v_mul_f32_e32 v70, 0x3f52af12, v70
	v_add_f32_e32 v32, v141, v32
	v_fma_f32 v64, 0xbf3f9e67, v18, -v64
	v_add_f32_e32 v52, v63, v52
	v_lshrrev_b32_e32 v63, 1, v40
	v_mul_f32_e32 v116, 0xbf6f5d39, v0
	v_fma_f32 v144, 0x3f116cb1, v6, -v23
	v_fmamk_f32 v130, v7, 0x3f116cb1, v70
	v_mul_f32_e32 v53, 0xbf6f5d39, v53
	v_mul_f32_e32 v73, 0xbf6f5d39, v73
	v_fmac_f32_e32 v23, 0x3f116cb1, v6
	v_add_f32_e32 v32, v64, v32
	v_fma_f32 v64, 0x3f116cb1, v7, -v70
	v_mul_lo_u32 v63, v63, 26
	v_fmamk_f32 v140, v1, 0xbeb58ec6, v116
	v_add_f32_e32 v134, v144, v134
	v_add_f32_e32 v127, v130, v127
	v_fma_f32 v130, 0xbeb58ec6, v9, -v53
	v_mul_f32_e32 v85, 0x3f7e222b, v85
	v_mul_f32_e32 v0, 0x3f7e222b, v0
	v_add_f32_e32 v23, v23, v52
	v_add_f32_e32 v32, v64, v32
	v_fma_f32 v52, 0xbeb58ec6, v8, -v73
	v_add_f32_e32 v31, v140, v31
	v_fmamk_f32 v140, v8, 0xbeb58ec6, v73
	v_fmac_f32_e32 v53, 0xbeb58ec6, v9
	v_add_f32_e32 v130, v130, v134
	v_fma_f32 v64, 0x3df6dbef, v5, -v85
	v_fmamk_f32 v70, v1, 0x3df6dbef, v0
	v_add_f32_e32 v32, v52, v32
	v_fma_f32 v0, 0x3df6dbef, v1, -v0
	v_or_b32_e32 v26, v63, v26
	v_add_f32_e32 v127, v140, v127
	v_add_f32_e32 v23, v53, v23
	v_fmac_f32_e32 v85, 0x3df6dbef, v5
	v_add_f32_e32 v52, v64, v130
	v_add_f32_e32 v64, v0, v32
	v_fmac_f32_e32 v65, 0x3f62ad3f, v35
	v_fma_f32 v0, 0x3f62ad3f, v66, -v67
	v_lshl_add_u32 v26, v26, 3, 0
	v_add_f32_e32 v53, v70, v127
	v_add_f32_e32 v63, v85, v23
	ds_write_b64 v27, v[33:34] offset:192
	ds_write2_b64 v26, v[10:11], v[2:3] offset1:2
	ds_write2_b64 v26, v[19:20], v[21:22] offset0:4 offset1:6
	ds_write2_b64 v26, v[28:29], v[30:31] offset0:8 offset1:10
	;; [unrolled: 1-line block ×3, first 2 shown]
	v_fma_f32 v3, 0x3df6dbef, v66, -v100
	v_add_f32_e32 v19, v65, v24
	v_add_f32_e32 v0, v0, v25
	v_fmac_f32_e32 v68, 0x3f116cb1, v16
	v_fma_f32 v21, 0x3f116cb1, v14, -v69
	v_fma_f32 v2, 0x3f116cb1, v66, -v88
	v_fmac_f32_e32 v17, 0x3df6dbef, v12
	v_add_f32_e32 v23, v3, v25
	v_add_f32_e32 v19, v68, v19
	;; [unrolled: 1-line block ×3, first 2 shown]
	v_fma_f32 v3, 0x3df6dbef, v18, -v71
	v_add_f32_e32 v2, v2, v25
	v_fmac_f32_e32 v72, 0xbeb58ec6, v6
	v_add_f32_e32 v17, v17, v19
	v_fma_f32 v19, 0xbeb58ec6, v14, -v90
	v_add_f32_e32 v0, v3, v0
	v_fma_f32 v3, 0xbeb58ec6, v7, -v13
	v_fmac_f32_e32 v87, 0x3f116cb1, v35
	v_add_f32_e32 v17, v72, v17
	v_fmac_f32_e32 v15, 0xbf3f9e67, v9
	v_add_f32_e32 v2, v19, v2
	v_add_f32_e32 v0, v3, v0
	v_fma_f32 v3, 0xbf3f9e67, v8, -v86
	v_fma_f32 v19, 0xbf788fa5, v18, -v92
	v_fmac_f32_e32 v111, 0xbeb58ec6, v35
	v_fma_f32 v10, 0xbeb58ec6, v66, -v112
	v_add_f32_e32 v20, v87, v24
	v_fmac_f32_e32 v89, 0xbeb58ec6, v16
	v_add_f32_e32 v15, v15, v17
	v_add_f32_e32 v17, v3, v0
	;; [unrolled: 1-line block ×3, first 2 shown]
	v_fma_f32 v3, 0xbf3f9e67, v7, -v95
	v_fmac_f32_e32 v99, 0x3df6dbef, v35
	v_fmac_f32_e32 v126, 0xbf3f9e67, v35
	v_fma_f32 v11, 0xbf3f9e67, v66, -v114
	v_add_f32_e32 v21, v111, v24
	v_add_f32_e32 v10, v10, v25
	;; [unrolled: 1-line block ×3, first 2 shown]
	v_fmac_f32_e32 v91, 0xbf788fa5, v12
	v_fmac_f32_e32 v113, 0xbf3f9e67, v16
	v_add_f32_e32 v2, v3, v2
	v_fma_f32 v3, 0xbf3f9e67, v14, -v115
	v_add_f32_e32 v22, v99, v24
	v_add_f32_e32 v13, v126, v24
	;; [unrolled: 1-line block ×4, first 2 shown]
	v_fmac_f32_e32 v94, 0xbf3f9e67, v6
	v_add_f32_e32 v11, v113, v21
	v_fmac_f32_e32 v117, 0x3f62ad3f, v12
	v_fma_f32 v20, 0x3df6dbef, v8, -v97
	v_add_f32_e32 v3, v3, v10
	v_fma_f32 v10, 0x3f62ad3f, v18, -v118
	v_add_f32_e32 v0, v94, v0
	v_fmac_f32_e32 v96, 0x3df6dbef, v9
	v_add_f32_e32 v11, v117, v11
	v_fmac_f32_e32 v120, 0x3df6dbef, v6
	v_add_f32_e32 v20, v20, v2
	v_add_f32_e32 v2, v10, v3
	v_fma_f32 v3, 0x3df6dbef, v7, -v121
	v_add_f32_e32 v0, v96, v0
	v_add_f32_e32 v10, v120, v11
	v_fmac_f32_e32 v98, 0x3f62ad3f, v5
	v_fma_f32 v11, 0x3f62ad3f, v1, -v105
	v_add_f32_e32 v21, v3, v2
	v_fma_f32 v25, 0xbf788fa5, v8, -v124
	v_fmac_f32_e32 v128, 0x3df6dbef, v16
	v_add_f32_e32 v2, v98, v0
	v_add_f32_e32 v3, v11, v20
	v_fma_f32 v11, 0x3f116cb1, v1, -v125
	v_add_f32_e32 v0, v25, v21
	v_fmac_f32_e32 v101, 0xbf788fa5, v16
	v_fma_f32 v20, 0xbf788fa5, v14, -v102
	v_add_f32_e32 v13, v128, v13
	v_fmac_f32_e32 v103, 0xbeb58ec6, v12
	v_add_f32_e32 v11, v11, v0
	v_fma_f32 v0, 0x3df6dbef, v14, -v131
	v_fmac_f32_e32 v133, 0x3f116cb1, v12
	v_fma_f32 v12, 0x3f116cb1, v18, -v135
	v_add_f32_e32 v14, v101, v22
	v_add_f32_e32 v16, v20, v23
	;; [unrolled: 1-line block ×3, first 2 shown]
	v_fma_f32 v20, 0xbeb58ec6, v18, -v104
	v_add_f32_e32 v13, v133, v13
	v_fmac_f32_e32 v106, 0x3f62ad3f, v6
	v_fmac_f32_e32 v136, 0xbf788fa5, v6
	v_add_f32_e32 v0, v12, v0
	v_fma_f32 v6, 0xbf788fa5, v7, -v137
	v_add_f32_e32 v14, v103, v14
	v_add_f32_e32 v16, v20, v16
	v_fma_f32 v18, 0x3f62ad3f, v7, -v108
	v_fmac_f32_e32 v123, 0xbf788fa5, v9
	v_add_f32_e32 v13, v136, v13
	v_add_f32_e32 v0, v6, v0
	v_fma_f32 v6, 0x3f116cb1, v8, -v110
	v_fmac_f32_e32 v138, 0x3f62ad3f, v9
	v_fma_f32 v8, 0x3f62ad3f, v8, -v139
	v_add_f32_e32 v7, v106, v14
	v_add_f32_e32 v12, v18, v16
	v_fmac_f32_e32 v109, 0x3f116cb1, v9
	v_subrev_nc_u32_e32 v85, 26, v36
	v_fmac_f32_e32 v4, 0xbf788fa5, v5
	v_add_f32_e32 v10, v123, v10
	v_fmac_f32_e32 v122, 0x3f116cb1, v5
	v_add_f32_e32 v9, v138, v13
	v_add_f32_e32 v8, v8, v0
	v_fmac_f32_e32 v129, 0xbeb58ec6, v5
	v_fmac_f32_e32 v107, 0xbf3f9e67, v5
	v_fma_f32 v5, 0xbeb58ec6, v1, -v116
	v_add_f32_e32 v7, v109, v7
	v_add_f32_e32 v6, v6, v12
	v_fma_f32 v12, 0xbf3f9e67, v1, -v119
	v_cndmask_b32_e64 v64, v85, v36, s0
	v_fma_f32 v19, 0xbf788fa5, v1, -v93
	v_add_f32_e32 v10, v122, v10
	v_add_f32_e32 v0, v129, v9
	;; [unrolled: 1-line block ×5, first 2 shown]
	v_mul_i32_i24_e32 v52, 12, v64
	v_mov_b32_e32 v53, 0
	ds_write2_b64 v26, v[0:1], v[10:11] offset0:16 offset1:18
	ds_write2_b64 v26, v[5:6], v[2:3] offset0:20 offset1:22
	v_and_b32_e32 v0, 0xff, v40
	v_add_f32_e32 v7, v4, v15
	v_lshlrev_b64 v[12:13], 3, v[52:53]
	v_add_f32_e32 v8, v19, v17
	v_mul_lo_u16 v0, 0x4f, v0
	v_add_co_u32 v28, s1, s12, v12
	v_add_co_ci_u32_e64 v29, s1, s13, v13, s1
	v_lshrrev_b16 v63, 11, v0
	ds_write_b64 v26, v[7:8] offset:192
	s_waitcnt lgkmcnt(0)
	s_barrier
	buffer_gl0_inv
	s_clause 0x1
	global_load_dwordx4 v[8:11], v[28:29], off offset:192
	global_load_dwordx4 v[4:7], v[28:29], off offset:208
	v_mul_lo_u16 v0, v63, 26
	v_mov_b32_e32 v12, 12
	v_cmp_lt_u32_e64 s1, 25, v36
	v_sub_nc_u16 v52, v40, v0
	global_load_dwordx4 v[0:3], v[28:29], off offset:224
	v_mul_u32_u24_sdwa v12, v52, v12 dst_sel:DWORD dst_unused:UNUSED_PAD src0_sel:BYTE_0 src1_sel:DWORD
	v_lshlrev_b32_e32 v65, 3, v12
	s_clause 0x8
	global_load_dwordx4 v[12:15], v65, s[12:13] offset:272
	global_load_dwordx4 v[24:27], v[28:29], off offset:272
	global_load_dwordx4 v[20:23], v65, s[12:13] offset:256
	global_load_dwordx4 v[16:19], v[28:29], off offset:256
	;; [unrolled: 2-line block ×3, first 2 shown]
	global_load_dwordx4 v[66:69], v65, s[12:13] offset:224
	global_load_dwordx4 v[70:73], v65, s[12:13] offset:208
	;; [unrolled: 1-line block ×3, first 2 shown]
	ds_read_b64 v[90:91], v79
	ds_read_b64 v[92:93], v78
	;; [unrolled: 1-line block ×6, first 2 shown]
	ds_read_b64 v[100:101], v74 offset:10400
	ds_read_b64 v[102:103], v57
	s_waitcnt vmcnt(11) lgkmcnt(7)
	v_mul_f32_e32 v62, v9, v91
	v_mul_f32_e32 v65, v9, v90
	s_waitcnt lgkmcnt(6)
	v_mul_f32_e32 v9, v11, v93
	v_mul_f32_e32 v57, v11, v92
	s_waitcnt vmcnt(10) lgkmcnt(5)
	v_mul_f32_e32 v107, v5, v94
	v_fma_f32 v62, v8, v90, -v62
	v_fmac_f32_e32 v65, v8, v91
	v_mul_f32_e32 v8, v5, v95
	v_fma_f32 v106, v10, v92, -v9
	v_fmac_f32_e32 v57, v10, v93
	ds_read2_b64 v[90:93], v59 offset0:172 offset1:224
	s_waitcnt lgkmcnt(5)
	v_mul_f32_e32 v5, v97, v7
	v_mul_f32_e32 v109, v96, v7
	s_waitcnt vmcnt(9) lgkmcnt(4)
	v_mul_f32_e32 v7, v99, v1
	v_fma_f32 v108, v4, v94, -v8
	v_fmac_f32_e32 v107, v4, v95
	v_fma_f32 v111, v96, v6, -v5
	v_fmac_f32_e32 v109, v97, v6
	v_fma_f32 v112, v98, v0, -v7
	ds_read2_b64 v[4:7], v59 offset0:68 offset1:120
	v_mul_f32_e32 v110, v98, v1
	ds_read2_b64 v[94:97], v84 offset0:92 offset1:144
	s_waitcnt lgkmcnt(3)
	v_mul_f32_e32 v1, v103, v3
	v_mul_f32_e32 v113, v102, v3
	s_waitcnt vmcnt(8)
	v_mul_f32_e32 v3, v101, v15
	v_fmac_f32_e32 v110, v99, v0
	v_mul_f32_e32 v0, v100, v15
	v_fma_f32 v114, v102, v2, -v1
	v_fmac_f32_e32 v113, v103, v2
	v_fma_f32 v2, v100, v14, -v3
	s_waitcnt lgkmcnt(2)
	v_mul_f32_e32 v1, v91, v13
	v_fmac_f32_e32 v0, v101, v14
	v_mul_f32_e32 v10, v90, v13
	s_waitcnt vmcnt(7)
	v_mul_f32_e32 v3, v93, v27
	v_mul_f32_e32 v115, v92, v27
	ds_read2_b64 v[98:101], v41 offset0:116 offset1:168
	v_fma_f32 v13, v90, v12, -v1
	v_fmac_f32_e32 v10, v91, v12
	v_fma_f32 v116, v92, v26, -v3
	v_fmac_f32_e32 v115, v93, v26
	s_waitcnt lgkmcnt(2)
	v_mul_f32_e32 v1, v7, v25
	ds_read2_b64 v[90:93], v41 offset0:12 offset1:64
	ds_read2_b64 v[102:105], v37 offset0:164 offset1:216
	v_mul_f32_e32 v117, v6, v25
	s_waitcnt vmcnt(5) lgkmcnt(3)
	v_mul_f32_e32 v119, v96, v19
	v_fma_f32 v118, v6, v24, -v1
	v_mul_f32_e32 v1, v95, v21
	v_mul_f32_e32 v9, v4, v23
	v_fmac_f32_e32 v117, v7, v24
	v_mul_f32_e32 v7, v94, v21
	v_fmac_f32_e32 v119, v97, v18
	v_fma_f32 v8, v94, v20, -v1
	v_mul_f32_e32 v1, v97, v19
	v_mul_f32_e32 v3, v5, v23
	v_fmac_f32_e32 v7, v95, v20
	v_fmac_f32_e32 v9, v5, v22
	s_waitcnt lgkmcnt(2)
	v_mul_f32_e32 v121, v100, v17
	v_fma_f32 v120, v96, v18, -v1
	s_waitcnt vmcnt(4)
	v_mul_f32_e32 v1, v99, v35
	ds_read2_b64 v[94:97], v74 offset1:156
	v_mul_f32_e32 v5, v98, v35
	v_sub_f32_e32 v35, v65, v115
	s_waitcnt vmcnt(3) lgkmcnt(1)
	v_mul_f32_e32 v12, v105, v29
	v_fma_f32 v6, v98, v34, -v1
	v_mul_f32_e32 v1, v93, v31
	v_fma_f32 v11, v4, v22, -v3
	v_mul_f32_e32 v3, v101, v17
	v_fmac_f32_e32 v121, v101, v16
	v_fmac_f32_e32 v5, v99, v34
	v_fma_f32 v99, v92, v30, -v1
	v_add_f32_e32 v101, v62, v116
	v_mul_f32_e32 v1, 0xbf52af12, v35
	v_fma_f32 v122, v104, v28, -v12
	v_mul_f32_e32 v104, v104, v29
	v_sub_f32_e32 v123, v57, v117
	v_sub_f32_e32 v125, v62, v116
	v_fma_f32 v100, v100, v16, -v3
	v_fma_f32 v124, 0x3f116cb1, v101, -v1
	v_fmac_f32_e32 v1, 0x3f116cb1, v101
	v_add_f32_e32 v12, v106, v118
	v_mul_f32_e32 v16, 0xbf6f5d39, v123
	v_fmac_f32_e32 v104, v105, v28
	v_add_f32_e32 v105, v65, v115
	v_mul_f32_e32 v126, 0xbf52af12, v125
	v_sub_f32_e32 v128, v106, v118
	v_sub_f32_e32 v129, v107, v119
	s_waitcnt lgkmcnt(0)
	v_add_f32_e32 v1, v1, v94
	v_fma_f32 v127, 0xbeb58ec6, v12, -v16
	v_fmac_f32_e32 v16, 0xbeb58ec6, v12
	v_fma_f32 v17, 0x3f116cb1, v105, -v126
	v_add_f32_e32 v15, v57, v117
	v_mul_f32_e32 v130, 0xbf6f5d39, v128
	v_add_f32_e32 v14, v108, v120
	v_mul_f32_e32 v18, 0xbe750f2a, v129
	v_sub_f32_e32 v131, v108, v120
	v_sub_f32_e32 v133, v109, v121
	v_mul_f32_e32 v98, v92, v31
	v_add_f32_e32 v1, v16, v1
	v_add_f32_e32 v19, v17, v95
	v_fma_f32 v20, 0xbeb58ec6, v15, -v130
	v_fma_f32 v132, 0xbf788fa5, v14, -v18
	v_fmac_f32_e32 v18, 0xbf788fa5, v14
	v_add_f32_e32 v17, v107, v119
	v_mul_f32_e32 v134, 0xbe750f2a, v131
	v_add_f32_e32 v16, v111, v100
	v_mul_f32_e32 v21, 0x3f29c268, v133
	v_sub_f32_e32 v135, v111, v100
	v_fmac_f32_e32 v98, v93, v30
	v_add_f32_e32 v22, v20, v19
	v_add_f32_e32 v1, v18, v1
	v_fma_f32 v18, 0xbf788fa5, v17, -v134
	v_fma_f32 v136, 0xbf3f9e67, v16, -v21
	v_fmac_f32_e32 v21, 0xbf3f9e67, v16
	v_add_f32_e32 v19, v109, v121
	v_mul_f32_e32 v138, 0x3f29c268, v135
	v_sub_f32_e32 v139, v112, v99
	v_sub_f32_e32 v137, v110, v98
	v_add_f32_e32 v18, v18, v22
	v_add_f32_e32 v1, v21, v1
	v_fma_f32 v21, 0xbf3f9e67, v19, -v138
	v_add_f32_e32 v22, v110, v98
	v_mul_f32_e32 v141, 0x3f7e222b, v139
	v_add_f32_e32 v20, v112, v99
	v_mul_f32_e32 v23, 0x3f7e222b, v137
	;; [unrolled: 2-line block ×3, first 2 shown]
	v_fma_f32 v21, 0x3df6dbef, v22, -v141
	v_mul_f32_e32 v146, 0xbf7e222b, v125
	v_fma_f32 v140, 0x3df6dbef, v20, -v23
	v_fmac_f32_e32 v23, 0x3df6dbef, v20
	v_sub_f32_e32 v142, v113, v104
	v_add_f32_e32 v18, v21, v18
	v_fma_f32 v147, 0x3df6dbef, v101, -v26
	v_fmac_f32_e32 v26, 0x3df6dbef, v101
	v_mul_f32_e32 v21, 0xbe750f2a, v123
	v_fma_f32 v27, 0x3df6dbef, v105, -v146
	v_mul_f32_e32 v148, 0xbe750f2a, v128
	v_add_f32_e32 v1, v23, v1
	v_sub_f32_e32 v143, v114, v122
	v_add_f32_e32 v23, v114, v122
	v_mul_f32_e32 v25, 0x3eedf032, v142
	v_add_f32_e32 v26, v26, v94
	v_fma_f32 v149, 0xbf788fa5, v12, -v21
	v_fmac_f32_e32 v21, 0xbf788fa5, v12
	v_add_f32_e32 v27, v27, v95
	v_fma_f32 v28, 0xbf788fa5, v15, -v148
	v_mul_f32_e32 v29, 0x3f6f5d39, v129
	v_mul_f32_e32 v150, 0x3f6f5d39, v131
	v_add_f32_e32 v24, v113, v104
	v_mul_f32_e32 v144, 0x3eedf032, v143
	v_fma_f32 v145, 0x3f62ad3f, v23, -v25
	v_fmac_f32_e32 v25, 0x3f62ad3f, v23
	v_add_f32_e32 v21, v21, v26
	v_add_f32_e32 v26, v28, v27
	v_fma_f32 v151, 0xbeb58ec6, v14, -v29
	v_fmac_f32_e32 v29, 0xbeb58ec6, v14
	v_fma_f32 v27, 0xbeb58ec6, v17, -v150
	v_mul_f32_e32 v28, 0x3eedf032, v133
	v_mul_f32_e32 v152, 0x3eedf032, v135
	v_fma_f32 v30, 0x3f62ad3f, v24, -v144
	v_add_f32_e32 v25, v25, v1
	v_add_f32_e32 v1, v29, v21
	;; [unrolled: 1-line block ×3, first 2 shown]
	v_fma_f32 v153, 0x3f62ad3f, v16, -v28
	v_fmac_f32_e32 v28, 0x3f62ad3f, v16
	v_fma_f32 v27, 0x3f62ad3f, v19, -v152
	v_mul_f32_e32 v29, 0xbf52af12, v137
	v_mul_f32_e32 v154, 0xbf52af12, v139
	v_add_f32_e32 v26, v30, v18
	v_add_f32_e32 v1, v28, v1
	;; [unrolled: 1-line block ×3, first 2 shown]
	v_fma_f32 v155, 0x3f116cb1, v20, -v29
	v_fmac_f32_e32 v29, 0x3f116cb1, v20
	v_fma_f32 v21, 0x3f116cb1, v22, -v154
	v_mul_f32_e32 v27, 0xbf29c268, v142
	v_mul_f32_e32 v156, 0xbf29c268, v143
	;; [unrolled: 1-line block ×4, first 2 shown]
	v_add_f32_e32 v1, v29, v1
	v_add_f32_e32 v18, v21, v18
	v_fma_f32 v157, 0xbf3f9e67, v23, -v27
	v_fmac_f32_e32 v27, 0xbf3f9e67, v23
	v_fma_f32 v21, 0xbf3f9e67, v24, -v156
	v_fma_f32 v4, v90, v32, -v4
	v_fmac_f32_e32 v3, v91, v32
	ds_read2_b64 v[28:31], v56 offset0:84 offset1:188
	ds_read2_b64 v[90:93], v58 offset0:4 offset1:108
	v_add_f32_e32 v32, v27, v1
	v_add_f32_e32 v33, v21, v18
	v_lshlrev_b32_e32 v1, 3, v64
	v_cndmask_b32_e64 v18, 0, 0xa90, s1
	s_waitcnt vmcnt(0) lgkmcnt(0)
	s_barrier
	buffer_gl0_inv
	v_mul_f32_e32 v56, 0xbeedf032, v35
	v_add3_u32 v1, 0, v18, v1
	v_add_f32_e32 v62, v62, v94
	v_add_f32_e32 v65, v65, v95
	v_mul_f32_e32 v64, 0xbf6f5d39, v35
	v_mul_f32_e32 v34, v97, v87
	v_add_nc_u32_e32 v18, 0x800, v1
	v_add_f32_e32 v62, v62, v106
	v_add_f32_e32 v57, v65, v57
	v_mul_f32_e32 v106, 0xbe750f2a, v142
	v_fma_f32 v34, v96, v86, -v34
	ds_write2_b64 v18, v[32:33], v[25:26] offset0:4 offset1:30
	v_mul_f32_e32 v18, v103, v69
	v_mul_f32_e32 v25, v31, v67
	;; [unrolled: 1-line block ×3, first 2 shown]
	v_add_f32_e32 v62, v62, v108
	v_mul_f32_e32 v33, v96, v87
	v_fma_f32 v21, v102, v68, -v18
	v_mul_f32_e32 v18, v102, v69
	v_fma_f32 v26, v30, v66, -v25
	v_mul_f32_e32 v25, v30, v67
	v_mul_f32_e32 v30, v29, v73
	;; [unrolled: 1-line block ×3, first 2 shown]
	v_fmac_f32_e32 v27, v29, v72
	v_mul_f32_e32 v29, v92, v71
	v_fmac_f32_e32 v25, v31, v66
	v_fma_f32 v28, v28, v72, -v30
	v_fma_f32 v66, 0x3f62ad3f, v101, -v56
	v_fmac_f32_e32 v56, 0x3f62ad3f, v101
	v_fmamk_f32 v72, v105, 0x3f62ad3f, v69
	v_mul_f32_e32 v30, v93, v71
	v_mul_f32_e32 v67, 0xbf29c268, v35
	v_add_f32_e32 v65, v66, v94
	v_mul_f32_e32 v35, 0xbe750f2a, v35
	v_add_f32_e32 v66, v72, v95
	v_add_f32_e32 v72, v56, v94
	;; [unrolled: 1-line block ×4, first 2 shown]
	v_fmac_f32_e32 v18, v103, v68
	v_fma_f32 v30, v92, v70, -v30
	v_fmac_f32_e32 v29, v93, v70
	v_add_f32_e32 v56, v56, v109
	v_add_f32_e32 v57, v57, v112
	v_fma_f32 v68, 0xbeb58ec6, v101, -v64
	v_fmac_f32_e32 v64, 0xbeb58ec6, v101
	v_fma_f32 v70, 0xbf3f9e67, v101, -v67
	v_add_f32_e32 v56, v56, v110
	v_add_f32_e32 v57, v57, v114
	v_fmac_f32_e32 v67, 0xbf3f9e67, v101
	v_fma_f32 v71, 0xbf788fa5, v101, -v35
	v_fmac_f32_e32 v35, 0xbf788fa5, v101
	v_add_f32_e32 v56, v56, v113
	v_add_f32_e32 v57, v57, v122
	v_fma_f32 v69, 0x3f62ad3f, v105, -v69
	v_fmac_f32_e32 v33, v97, v86
	v_add_f32_e32 v93, v147, v94
	v_add_f32_e32 v56, v56, v104
	v_add_f32_e32 v57, v57, v99
	v_mul_f32_e32 v99, 0xbf52af12, v128
	v_add_f32_e32 v62, v69, v95
	v_add_f32_e32 v69, v124, v94
	;; [unrolled: 1-line block ×3, first 2 shown]
	v_mul_f32_e32 v98, 0xbf52af12, v123
	v_add_f32_e32 v68, v68, v94
	v_add_f32_e32 v96, v64, v94
	;; [unrolled: 1-line block ×7, first 2 shown]
	v_fma_f32 v64, 0x3f116cb1, v12, -v98
	v_fmamk_f32 v67, v15, 0x3f116cb1, v99
	v_mul_f32_e32 v94, 0xbf7e222b, v129
	v_mul_f32_e32 v100, 0xbf7e222b, v131
	;; [unrolled: 1-line block ×7, first 2 shown]
	v_add_f32_e32 v64, v64, v65
	v_add_f32_e32 v65, v67, v66
	v_fma_f32 v66, 0x3df6dbef, v14, -v94
	v_fmamk_f32 v67, v17, 0x3df6dbef, v100
	v_mul_f32_e32 v101, 0xbf6f5d39, v133
	v_mul_f32_e32 v102, 0xbf6f5d39, v135
	v_fma_f32 v32, v90, v88, -v32
	v_fmac_f32_e32 v31, v91, v88
	v_fmamk_f32 v86, v105, 0x3f116cb1, v126
	v_fmamk_f32 v88, v105, 0x3df6dbef, v146
	;; [unrolled: 1-line block ×3, first 2 shown]
	v_fma_f32 v73, 0xbeb58ec6, v105, -v73
	v_fmamk_f32 v91, v105, 0xbf3f9e67, v87
	v_fma_f32 v87, 0xbf3f9e67, v105, -v87
	v_fmamk_f32 v92, v105, 0xbf788fa5, v89
	v_fma_f32 v89, 0xbf788fa5, v105, -v89
	v_add_f32_e32 v56, v56, v121
	v_add_f32_e32 v64, v66, v64
	;; [unrolled: 1-line block ×3, first 2 shown]
	v_fma_f32 v66, 0xbeb58ec6, v16, -v101
	v_fmamk_f32 v67, v19, 0xbeb58ec6, v102
	v_mul_f32_e32 v103, 0xbf29c268, v137
	v_mul_f32_e32 v105, 0xbf29c268, v139
	v_add_f32_e32 v57, v57, v120
	v_add_f32_e32 v56, v56, v119
	;; [unrolled: 1-line block ×4, first 2 shown]
	v_fma_f32 v66, 0xbf3f9e67, v20, -v103
	v_fmamk_f32 v67, v22, 0xbf3f9e67, v105
	v_mul_f32_e32 v107, 0xbe750f2a, v143
	v_add_f32_e32 v57, v57, v118
	v_add_f32_e32 v104, v56, v117
	;; [unrolled: 1-line block ×3, first 2 shown]
	v_fma_f32 v66, 0xbf788fa5, v23, -v106
	v_add_f32_e32 v65, v67, v65
	v_fmamk_f32 v67, v24, 0xbf788fa5, v107
	v_add_f32_e32 v86, v86, v95
	v_add_f32_e32 v56, v57, v116
	v_fmamk_f32 v108, v15, 0xbeb58ec6, v130
	v_add_f32_e32 v57, v104, v115
	v_add_f32_e32 v64, v66, v64
	;; [unrolled: 1-line block ×6, first 2 shown]
	v_fmamk_f32 v69, v17, 0xbf788fa5, v134
	v_add_f32_e32 v66, v132, v66
	ds_write2_b64 v1, v[56:57], v[64:65] offset1:26
	v_fmamk_f32 v56, v15, 0xbf788fa5, v148
	v_fmamk_f32 v64, v19, 0xbf3f9e67, v138
	v_add_f32_e32 v57, v69, v67
	v_add_f32_e32 v65, v136, v66
	;; [unrolled: 1-line block ×4, first 2 shown]
	v_fmamk_f32 v67, v17, 0xbeb58ec6, v150
	v_add_f32_e32 v57, v64, v57
	v_fmamk_f32 v64, v22, 0x3df6dbef, v141
	v_add_f32_e32 v65, v140, v65
	v_add_f32_e32 v66, v151, v66
	;; [unrolled: 1-line block ×3, first 2 shown]
	v_fmamk_f32 v69, v19, 0x3f62ad3f, v152
	v_add_f32_e32 v86, v89, v95
	v_add_f32_e32 v57, v64, v57
	v_fmamk_f32 v64, v24, 0x3f62ad3f, v144
	v_add_f32_e32 v56, v145, v65
	v_add_f32_e32 v65, v153, v66
	;; [unrolled: 1-line block ×3, first 2 shown]
	v_fmamk_f32 v67, v22, 0x3f116cb1, v154
	v_mul_f32_e32 v88, 0x3f29c268, v123
	v_mul_f32_e32 v89, 0x3f29c268, v128
	v_add_f32_e32 v90, v90, v95
	v_add_f32_e32 v73, v73, v95
	;; [unrolled: 1-line block ×8, first 2 shown]
	v_fma_f32 v66, 0xbf3f9e67, v12, -v88
	v_fmamk_f32 v67, v15, 0xbf3f9e67, v89
	v_mul_f32_e32 v93, 0x3eedf032, v129
	v_mul_f32_e32 v95, 0x3eedf032, v131
	;; [unrolled: 1-line block ×3, first 2 shown]
	v_add_f32_e32 v66, v66, v68
	v_add_f32_e32 v67, v67, v90
	v_fma_f32 v68, 0x3f62ad3f, v14, -v93
	v_fmamk_f32 v90, v17, 0x3f62ad3f, v95
	v_mul_f32_e32 v108, 0xbf7e222b, v135
	v_mul_f32_e32 v111, 0x3f7e222b, v123
	v_fmamk_f32 v69, v24, 0xbf3f9e67, v156
	v_add_f32_e32 v66, v68, v66
	v_add_f32_e32 v67, v90, v67
	v_fma_f32 v68, 0x3df6dbef, v16, -v104
	v_mul_f32_e32 v90, 0x3e750f2a, v137
	v_fmamk_f32 v109, v19, 0x3df6dbef, v108
	v_mul_f32_e32 v110, 0x3e750f2a, v139
	v_mul_f32_e32 v112, 0x3f7e222b, v128
	v_add_f32_e32 v66, v68, v66
	v_fma_f32 v68, 0xbf788fa5, v20, -v90
	v_mul_f32_e32 v113, 0xbf52af12, v129
	v_add_f32_e32 v65, v69, v65
	v_add_f32_e32 v67, v109, v67
	v_fmamk_f32 v69, v22, 0xbf788fa5, v110
	v_add_f32_e32 v66, v68, v66
	v_fma_f32 v68, 0x3df6dbef, v12, -v111
	v_mul_f32_e32 v109, 0x3f52af12, v142
	v_fma_f32 v114, 0x3f116cb1, v14, -v113
	v_mul_f32_e32 v115, 0xbf52af12, v131
	v_mul_f32_e32 v116, 0x3e750f2a, v133
	v_add_f32_e32 v68, v68, v70
	v_fmamk_f32 v70, v15, 0x3df6dbef, v112
	v_add_f32_e32 v67, v69, v67
	v_fma_f32 v69, 0x3f116cb1, v23, -v109
	v_mul_f32_e32 v118, 0x3e750f2a, v135
	v_add_f32_e32 v68, v114, v68
	v_add_f32_e32 v70, v70, v91
	v_fmamk_f32 v91, v17, 0x3f116cb1, v115
	v_fma_f32 v114, 0xbf788fa5, v16, -v116
	v_mul_f32_e32 v119, 0x3eedf032, v137
	v_mul_f32_e32 v117, 0x3f52af12, v143
	v_add_f32_e32 v66, v69, v66
	v_add_f32_e32 v69, v91, v70
	;; [unrolled: 1-line block ×3, first 2 shown]
	v_fmamk_f32 v70, v19, 0xbf788fa5, v118
	v_fma_f32 v91, 0x3f62ad3f, v20, -v119
	v_mul_f32_e32 v114, 0x3eedf032, v139
	v_mul_f32_e32 v120, 0xbf6f5d39, v142
	v_fmamk_f32 v121, v24, 0x3f116cb1, v117
	v_add_f32_e32 v69, v70, v69
	v_add_f32_e32 v68, v91, v68
	v_fmamk_f32 v70, v22, 0x3f62ad3f, v114
	v_fma_f32 v91, 0xbeb58ec6, v23, -v120
	v_mul_f32_e32 v122, 0x3eedf032, v123
	v_mul_f32_e32 v123, 0x3eedf032, v128
	v_add_f32_e32 v67, v121, v67
	v_add_f32_e32 v69, v70, v69
	;; [unrolled: 1-line block ×3, first 2 shown]
	v_fma_f32 v70, 0x3f62ad3f, v12, -v122
	v_fmamk_f32 v91, v15, 0x3f62ad3f, v123
	v_mul_f32_e32 v121, 0xbf29c268, v129
	v_mul_f32_e32 v125, 0xbf6f5d39, v143
	;; [unrolled: 1-line block ×3, first 2 shown]
	v_add_f32_e32 v70, v70, v71
	v_add_f32_e32 v71, v91, v92
	v_fma_f32 v91, 0xbf3f9e67, v14, -v121
	v_mul_f32_e32 v126, 0x3f52af12, v133
	v_fmamk_f32 v128, v24, 0xbeb58ec6, v125
	v_add_f32_e32 v64, v157, v64
	v_fmamk_f32 v92, v17, 0xbf3f9e67, v124
	v_mul_f32_e32 v127, 0x3f52af12, v135
	v_add_f32_e32 v70, v91, v70
	v_fma_f32 v91, 0x3f116cb1, v16, -v126
	v_mul_f32_e32 v129, 0xbf6f5d39, v137
	v_add_f32_e32 v69, v128, v69
	v_add_f32_e32 v71, v92, v71
	v_fmamk_f32 v92, v19, 0x3f116cb1, v127
	v_mul_f32_e32 v130, 0xbf6f5d39, v139
	v_add_f32_e32 v70, v91, v70
	v_fma_f32 v91, 0xbeb58ec6, v20, -v129
	ds_write2_b64 v1, v[56:57], v[64:65] offset0:52 offset1:78
	ds_write2_b64 v1, v[66:67], v[68:69] offset0:104 offset1:130
	v_fmac_f32_e32 v122, 0x3f62ad3f, v12
	v_mul_f32_e32 v64, 0x3f7e222b, v142
	v_fma_f32 v65, 0x3f62ad3f, v15, -v123
	v_add_f32_e32 v71, v92, v71
	v_fmamk_f32 v92, v22, 0xbeb58ec6, v130
	v_add_f32_e32 v56, v91, v70
	v_add_f32_e32 v35, v122, v35
	v_fmac_f32_e32 v121, 0xbf3f9e67, v14
	v_mul_f32_e32 v66, 0x3f7e222b, v143
	v_fma_f32 v67, 0x3df6dbef, v23, -v64
	v_add_f32_e32 v65, v65, v86
	v_fma_f32 v68, 0xbf3f9e67, v17, -v124
	v_add_f32_e32 v57, v92, v71
	v_add_f32_e32 v35, v121, v35
	v_fmac_f32_e32 v126, 0x3f116cb1, v16
	v_add_f32_e32 v56, v67, v56
	v_fmamk_f32 v67, v24, 0x3df6dbef, v66
	v_add_f32_e32 v65, v68, v65
	v_fma_f32 v68, 0x3f116cb1, v19, -v127
	v_fmac_f32_e32 v88, 0xbf3f9e67, v12
	v_add_f32_e32 v35, v126, v35
	v_fmac_f32_e32 v129, 0xbeb58ec6, v20
	v_add_f32_e32 v57, v67, v57
	v_add_f32_e32 v65, v68, v65
	v_fma_f32 v67, 0xbf3f9e67, v15, -v89
	v_fma_f32 v68, 0xbeb58ec6, v22, -v130
	v_add_f32_e32 v69, v88, v96
	v_fmac_f32_e32 v93, 0x3f62ad3f, v14
	v_add_f32_e32 v35, v129, v35
	v_add_f32_e32 v67, v67, v73
	v_fma_f32 v70, 0x3f62ad3f, v17, -v95
	v_add_f32_e32 v65, v68, v65
	v_fmac_f32_e32 v64, 0x3df6dbef, v23
	v_add_f32_e32 v68, v93, v69
	v_fmac_f32_e32 v104, 0x3df6dbef, v16
	v_fma_f32 v66, 0x3df6dbef, v24, -v66
	v_add_f32_e32 v67, v70, v67
	v_fma_f32 v69, 0x3df6dbef, v19, -v108
	v_add_f32_e32 v64, v64, v35
	v_add_f32_e32 v35, v104, v68
	v_fmac_f32_e32 v90, 0xbf788fa5, v20
	v_add_f32_e32 v65, v66, v65
	v_fma_f32 v66, 0x3df6dbef, v15, -v112
	v_add_f32_e32 v67, v69, v67
	v_fma_f32 v68, 0xbf788fa5, v22, -v110
	v_add_f32_e32 v35, v90, v35
	v_fmac_f32_e32 v109, 0x3f116cb1, v23
	v_add_f32_e32 v69, v66, v87
	v_fma_f32 v70, 0x3f116cb1, v17, -v115
	v_add_f32_e32 v67, v68, v67
	v_fma_f32 v71, 0x3f116cb1, v24, -v117
	v_add_f32_e32 v66, v109, v35
	v_fmac_f32_e32 v111, 0x3df6dbef, v12
	v_add_f32_e32 v35, v70, v69
	v_fma_f32 v69, 0xbf788fa5, v19, -v118
	v_add_f32_e32 v67, v71, v67
	v_add_f32_e32 v70, v34, v54
	;; [unrolled: 1-line block ×3, first 2 shown]
	v_fmac_f32_e32 v98, 0x3f116cb1, v12
	v_add_f32_e32 v35, v69, v35
	v_fma_f32 v69, 0x3f62ad3f, v22, -v114
	v_add_f32_e32 v70, v70, v32
	v_fma_f32 v15, 0x3f116cb1, v15, -v99
	v_fmac_f32_e32 v113, 0x3f116cb1, v14
	v_fmac_f32_e32 v94, 0x3df6dbef, v14
	v_add_f32_e32 v35, v69, v35
	v_add_f32_e32 v69, v71, v31
	;; [unrolled: 1-line block ×3, first 2 shown]
	v_fma_f32 v71, 0xbeb58ec6, v24, -v125
	v_add_f32_e32 v14, v15, v62
	v_fma_f32 v15, 0x3df6dbef, v17, -v100
	v_add_f32_e32 v12, v69, v29
	v_add_f32_e32 v70, v70, v28
	v_fmac_f32_e32 v116, 0xbf788fa5, v16
	v_add_f32_e32 v69, v71, v35
	v_add_f32_e32 v35, v98, v72
	v_add_f32_e32 v12, v12, v27
	v_add_f32_e32 v70, v70, v26
	v_fmac_f32_e32 v101, 0xbeb58ec6, v16
	v_add_f32_e32 v14, v15, v14
	v_fma_f32 v16, 0xbeb58ec6, v19, -v102
	v_add_f32_e32 v12, v12, v25
	v_add_f32_e32 v17, v70, v21
	;; [unrolled: 1-line block ×3, first 2 shown]
	v_fmac_f32_e32 v103, 0xbf3f9e67, v20
	v_add_f32_e32 v14, v16, v14
	v_add_f32_e32 v12, v12, v18
	;; [unrolled: 1-line block ×3, first 2 shown]
	v_fma_f32 v16, 0xbf3f9e67, v22, -v105
	v_add_f32_e32 v17, v101, v35
	v_fma_f32 v19, 0xbf788fa5, v24, -v107
	v_add_f32_e32 v12, v12, v3
	v_add_f32_e32 v15, v15, v6
	;; [unrolled: 1-line block ×3, first 2 shown]
	v_sub_f32_e32 v24, v33, v0
	v_add_f32_e32 v35, v34, v2
	v_add_f32_e32 v12, v12, v5
	v_add_f32_e32 v15, v15, v8
	v_sub_f32_e32 v34, v34, v2
	v_fmac_f32_e32 v119, 0x3f62ad3f, v20
	v_add_f32_e32 v17, v103, v17
	v_add_f32_e32 v12, v12, v7
	v_fmac_f32_e32 v106, 0xbf788fa5, v23
	v_add_f32_e32 v20, v15, v11
	v_add_f32_e32 v15, v19, v16
	v_mul_f32_e32 v62, 0xbeedf032, v24
	v_add_f32_e32 v16, v12, v9
	v_add_f32_e32 v33, v33, v0
	v_sub_f32_e32 v70, v31, v10
	v_add_f32_e32 v12, v32, v13
	v_mul_f32_e32 v71, 0xbeedf032, v34
	v_sub_f32_e32 v32, v32, v13
	v_add_f32_e32 v14, v106, v17
	v_add_f32_e32 v17, v20, v13
	v_fma_f32 v19, 0x3f62ad3f, v35, -v62
	v_mul_f32_e32 v72, 0xbf52af12, v70
	v_add_f32_e32 v13, v31, v10
	v_fmamk_f32 v20, v33, 0x3f62ad3f, v71
	v_mul_f32_e32 v31, 0xbf52af12, v32
	v_sub_f32_e32 v73, v29, v9
	v_fmac_f32_e32 v120, 0xbeb58ec6, v23
	v_add_f32_e32 v19, v19, v54
	v_fma_f32 v22, 0x3f116cb1, v12, -v72
	v_add_f32_e32 v23, v16, v10
	v_add_f32_e32 v16, v20, v55
	v_fmamk_f32 v20, v13, 0x3f116cb1, v31
	v_add_f32_e32 v10, v30, v11
	v_mul_f32_e32 v86, 0xbf7e222b, v73
	v_sub_f32_e32 v30, v30, v11
	v_add_f32_e32 v9, v29, v9
	v_sub_f32_e32 v29, v27, v7
	v_add_f32_e32 v19, v22, v19
	v_add_f32_e32 v20, v20, v16
	v_fma_f32 v16, 0x3df6dbef, v10, -v86
	v_mul_f32_e32 v87, 0xbf7e222b, v30
	v_add_f32_e32 v11, v28, v8
	v_sub_f32_e32 v8, v28, v8
	v_mul_f32_e32 v28, 0xbf6f5d39, v29
	v_add_f32_e32 v19, v16, v19
	v_fmamk_f32 v22, v9, 0x3df6dbef, v87
	v_add_f32_e32 v7, v27, v7
	v_mul_f32_e32 v27, 0xbf6f5d39, v8
	v_fma_f32 v88, 0xbeb58ec6, v11, -v28
	v_add_f32_e32 v16, v17, v2
	v_sub_f32_e32 v89, v25, v5
	v_add_f32_e32 v2, v26, v6
	v_sub_f32_e32 v26, v26, v6
	v_add_f32_e32 v17, v22, v20
	v_fmamk_f32 v20, v7, 0xbeb58ec6, v27
	v_add_f32_e32 v19, v88, v19
	v_mul_f32_e32 v88, 0xbf29c268, v89
	v_add_f32_e32 v5, v25, v5
	v_sub_f32_e32 v25, v18, v3
	v_mul_f32_e32 v90, 0xbf29c268, v26
	v_add_f32_e32 v6, v21, v4
	v_sub_f32_e32 v4, v21, v4
	v_add_f32_e32 v20, v20, v17
	v_fma_f32 v17, 0xbf3f9e67, v2, -v88
	v_mul_f32_e32 v91, 0xbe750f2a, v25
	v_fmamk_f32 v21, v5, 0xbf3f9e67, v90
	v_add_f32_e32 v3, v18, v3
	v_mul_f32_e32 v92, 0xbe750f2a, v4
	v_mul_f32_e32 v93, 0xbf52af12, v24
	v_add_f32_e32 v19, v17, v19
	v_fma_f32 v18, 0xbf788fa5, v6, -v91
	v_add_f32_e32 v17, v23, v0
	v_add_f32_e32 v0, v21, v20
	v_fmamk_f32 v20, v3, 0xbf788fa5, v92
	v_fma_f32 v21, 0x3f116cb1, v35, -v93
	v_mul_f32_e32 v94, 0xbf6f5d39, v70
	v_mul_f32_e32 v95, 0xbf52af12, v34
	v_add_f32_e32 v68, v111, v97
	v_add_f32_e32 v18, v18, v19
	v_add_f32_e32 v19, v20, v0
	v_mov_b32_e32 v0, 0xa90
	v_add_f32_e32 v20, v21, v54
	v_fma_f32 v21, 0xbeb58ec6, v12, -v94
	v_fmamk_f32 v22, v33, 0x3f116cb1, v95
	v_mul_f32_e32 v96, 0xbf6f5d39, v32
	v_mul_f32_e32 v97, 0xbe750f2a, v73
	v_mul_u32_u24_sdwa v0, v63, v0 dst_sel:DWORD dst_unused:UNUSED_PAD src0_sel:WORD_0 src1_sel:DWORD
	v_add_f32_e32 v20, v21, v20
	v_add_f32_e32 v21, v22, v55
	v_fmamk_f32 v22, v13, 0xbeb58ec6, v96
	v_fma_f32 v23, 0xbf788fa5, v10, -v97
	v_mul_f32_e32 v63, 0xbe750f2a, v30
	v_mul_f32_e32 v99, 0x3f29c268, v29
	v_mov_b32_e32 v98, 3
	v_add_f32_e32 v21, v22, v21
	v_add_f32_e32 v20, v23, v20
	v_fmamk_f32 v22, v9, 0xbf788fa5, v63
	v_mul_f32_e32 v100, 0x3f29c268, v8
	v_fma_f32 v23, 0xbf3f9e67, v11, -v99
	v_mul_f32_e32 v101, 0x3f7e222b, v89
	v_lshlrev_b32_sdwa v52, v98, v52 dst_sel:DWORD dst_unused:UNUSED_PAD src0_sel:DWORD src1_sel:BYTE_0
	v_add_f32_e32 v21, v22, v21
	v_fmamk_f32 v22, v7, 0xbf3f9e67, v100
	v_add_f32_e32 v20, v23, v20
	v_fma_f32 v23, 0x3df6dbef, v2, -v101
	v_mul_f32_e32 v98, 0x3f7e222b, v26
	v_mul_f32_e32 v102, 0xbf7e222b, v24
	;; [unrolled: 1-line block ×3, first 2 shown]
	v_add_f32_e32 v21, v22, v21
	v_add_f32_e32 v20, v23, v20
	v_fmamk_f32 v22, v5, 0x3df6dbef, v98
	v_fma_f32 v23, 0x3df6dbef, v35, -v102
	v_mul_f32_e32 v104, 0xbe750f2a, v70
	v_fmamk_f32 v105, v33, 0x3df6dbef, v103
	v_mul_f32_e32 v106, 0xbe750f2a, v32
	v_add_f32_e32 v21, v22, v21
	v_add_f32_e32 v22, v23, v54
	v_fma_f32 v23, 0xbf788fa5, v12, -v104
	v_add_f32_e32 v105, v105, v55
	v_fmamk_f32 v107, v13, 0xbf788fa5, v106
	v_mul_f32_e32 v108, 0x3f6f5d39, v73
	v_mul_f32_e32 v109, 0x3f6f5d39, v30
	v_add_f32_e32 v22, v23, v22
	v_mul_f32_e32 v111, 0x3eedf032, v29
	v_add_f32_e32 v23, v107, v105
	v_fma_f32 v105, 0xbeb58ec6, v10, -v108
	v_fmamk_f32 v107, v9, 0xbeb58ec6, v109
	v_mul_f32_e32 v112, 0x3eedf032, v8
	v_add_f32_e32 v68, v113, v68
	v_mul_f32_e32 v114, 0xbf52af12, v89
	v_add_f32_e32 v22, v105, v22
	v_add_f32_e32 v23, v107, v23
	v_fma_f32 v105, 0x3f62ad3f, v11, -v111
	v_fmamk_f32 v107, v7, 0x3f62ad3f, v112
	v_mul_f32_e32 v115, 0xbf52af12, v26
	v_add_f32_e32 v68, v116, v68
	v_mul_f32_e32 v110, 0x3eedf032, v25
	v_mul_f32_e32 v116, 0x3eedf032, v4
	v_add_f32_e32 v22, v105, v22
	v_add_f32_e32 v23, v107, v23
	v_fma_f32 v105, 0x3f116cb1, v2, -v114
	v_fmamk_f32 v107, v5, 0x3f116cb1, v115
	v_mul_f32_e32 v117, 0xbf29c268, v25
	v_mul_f32_e32 v118, 0xbf29c268, v4
	v_add_f32_e32 v68, v119, v68
	v_fma_f32 v113, 0x3f62ad3f, v6, -v110
	v_fmamk_f32 v119, v3, 0x3f62ad3f, v116
	v_add_f32_e32 v22, v105, v22
	v_add_f32_e32 v23, v107, v23
	v_fma_f32 v105, 0xbf3f9e67, v6, -v117
	v_fmamk_f32 v107, v3, 0xbf3f9e67, v118
	v_add3_u32 v52, 0, v0, v52
	v_mul_f32_e32 v0, 0xbf6f5d39, v24
	v_add_f32_e32 v68, v120, v68
	v_add_f32_e32 v20, v113, v20
	;; [unrolled: 1-line block ×5, first 2 shown]
	ds_write2_b64 v1, v[56:57], v[64:65] offset0:156 offset1:182
	ds_write2_b64 v1, v[68:69], v[66:67] offset0:208 offset1:234
	ds_write_b64 v1, v[14:15] offset:2496
	ds_write2_b64 v52, v[16:17], v[18:19] offset1:26
	ds_write2_b64 v52, v[20:21], v[22:23] offset0:52 offset1:78
	v_fmac_f32_e32 v62, 0x3f62ad3f, v35
	v_mul_f32_e32 v1, 0xbf29c268, v24
	v_mul_f32_e32 v14, 0xbe750f2a, v24
	v_fma_f32 v15, 0xbeb58ec6, v35, -v0
	v_fmac_f32_e32 v0, 0xbeb58ec6, v35
	v_fma_f32 v18, 0x3f62ad3f, v33, -v71
	v_mul_f32_e32 v19, 0xbf6f5d39, v34
	v_mul_f32_e32 v21, 0xbf29c268, v34
	;; [unrolled: 1-line block ×3, first 2 shown]
	v_fmac_f32_e32 v93, 0x3f116cb1, v35
	v_fmac_f32_e32 v102, 0x3df6dbef, v35
	v_fma_f32 v16, 0xbf3f9e67, v35, -v1
	v_fmac_f32_e32 v1, 0xbf3f9e67, v35
	v_fma_f32 v17, 0xbf788fa5, v35, -v14
	v_fmac_f32_e32 v14, 0xbf788fa5, v35
	v_fma_f32 v20, 0x3f116cb1, v33, -v95
	v_fma_f32 v22, 0x3df6dbef, v33, -v103
	v_fmamk_f32 v24, v33, 0xbeb58ec6, v19
	v_fma_f32 v19, 0xbeb58ec6, v33, -v19
	v_fmamk_f32 v34, v33, 0xbf3f9e67, v21
	v_fma_f32 v21, 0xbf3f9e67, v33, -v21
	v_fmamk_f32 v35, v33, 0xbf788fa5, v23
	v_fma_f32 v23, 0xbf788fa5, v33, -v23
	v_add_f32_e32 v33, v62, v54
	v_add_f32_e32 v18, v18, v55
	;; [unrolled: 1-line block ×3, first 2 shown]
	v_fma_f32 v0, 0x3f116cb1, v13, -v31
	v_fmac_f32_e32 v72, 0x3f116cb1, v12
	v_add_f32_e32 v56, v93, v54
	v_add_f32_e32 v31, v1, v54
	v_fmac_f32_e32 v86, 0x3df6dbef, v10
	v_add_f32_e32 v0, v0, v18
	v_fma_f32 v18, 0x3df6dbef, v9, -v87
	v_add_f32_e32 v1, v72, v33
	v_add_f32_e32 v33, v17, v54
	v_fma_f32 v17, 0xbeb58ec6, v7, -v27
	v_fmac_f32_e32 v94, 0xbeb58ec6, v12
	v_add_f32_e32 v0, v18, v0
	v_add_f32_e32 v20, v20, v55
	;; [unrolled: 1-line block ×3, first 2 shown]
	v_fmac_f32_e32 v28, 0xbeb58ec6, v11
	v_add_f32_e32 v27, v14, v54
	v_add_f32_e32 v0, v17, v0
	v_fma_f32 v14, 0xbf3f9e67, v5, -v90
	v_fma_f32 v17, 0xbeb58ec6, v13, -v96
	v_add_f32_e32 v18, v94, v56
	v_fmac_f32_e32 v97, 0xbf788fa5, v10
	v_add_f32_e32 v1, v28, v1
	v_fmac_f32_e32 v88, 0xbf3f9e67, v2
	v_add_f32_e32 v28, v14, v0
	v_add_f32_e32 v0, v17, v20
	v_fma_f32 v14, 0xbf788fa5, v9, -v63
	v_add_f32_e32 v17, v97, v18
	v_fmac_f32_e32 v99, 0xbf3f9e67, v11
	v_add_f32_e32 v57, v102, v54
	v_add_f32_e32 v1, v88, v1
	v_fmac_f32_e32 v91, 0xbf788fa5, v6
	v_add_f32_e32 v0, v14, v0
	v_fma_f32 v14, 0xbf3f9e67, v7, -v100
	v_add_f32_e32 v17, v99, v17
	v_fmac_f32_e32 v101, 0x3df6dbef, v2
	v_fmac_f32_e32 v104, 0xbf788fa5, v12
	v_add_f32_e32 v22, v22, v55
	v_add_f32_e32 v15, v15, v54
	;; [unrolled: 1-line block ×5, first 2 shown]
	v_fma_f32 v1, 0x3df6dbef, v5, -v98
	v_add_f32_e32 v14, v101, v17
	v_fma_f32 v17, 0xbf788fa5, v13, -v106
	v_add_f32_e32 v18, v104, v57
	v_fmac_f32_e32 v108, 0xbeb58ec6, v10
	v_add_f32_e32 v0, v1, v0
	v_fmac_f32_e32 v110, 0x3f62ad3f, v6
	v_add_f32_e32 v1, v17, v22
	v_fma_f32 v17, 0xbeb58ec6, v9, -v109
	v_add_f32_e32 v18, v108, v18
	v_fmac_f32_e32 v111, 0x3f62ad3f, v11
	v_fma_f32 v22, 0x3f62ad3f, v3, -v116
	v_add_f32_e32 v56, v110, v14
	v_add_f32_e32 v1, v17, v1
	v_fma_f32 v14, 0x3f62ad3f, v7, -v112
	v_add_f32_e32 v17, v111, v18
	v_fmac_f32_e32 v114, 0x3f116cb1, v2
	v_mul_f32_e32 v18, 0x3f29c268, v70
	v_add_f32_e32 v24, v24, v55
	v_add_f32_e32 v19, v19, v55
	;; [unrolled: 1-line block ×8, first 2 shown]
	v_fma_f32 v1, 0x3f116cb1, v5, -v115
	v_add_f32_e32 v14, v114, v17
	v_fma_f32 v17, 0xbf3f9e67, v12, -v18
	v_mul_f32_e32 v22, 0x3f29c268, v32
	v_mul_f32_e32 v55, 0x3eedf032, v73
	v_add_f32_e32 v1, v1, v0
	v_mul_f32_e32 v63, 0x3eedf032, v30
	v_add_f32_e32 v0, v17, v15
	v_fmamk_f32 v15, v13, 0xbf3f9e67, v22
	v_fma_f32 v17, 0x3f62ad3f, v10, -v55
	v_mul_f32_e32 v64, 0xbf7e222b, v29
	v_fmac_f32_e32 v117, 0xbf3f9e67, v6
	v_mul_f32_e32 v67, 0xbf7e222b, v8
	v_add_f32_e32 v15, v15, v24
	v_add_f32_e32 v17, v17, v0
	v_fmamk_f32 v24, v9, 0x3f62ad3f, v63
	v_fma_f32 v66, 0x3df6dbef, v11, -v64
	v_mul_f32_e32 v68, 0x3e750f2a, v89
	v_add_f32_e32 v0, v117, v14
	v_fma_f32 v22, 0xbf3f9e67, v13, -v22
	v_add_f32_e32 v14, v24, v15
	v_add_f32_e32 v15, v66, v17
	v_fmamk_f32 v17, v7, 0x3df6dbef, v67
	v_fma_f32 v24, 0xbf788fa5, v2, -v68
	v_fmac_f32_e32 v18, 0xbf3f9e67, v12
	v_add_f32_e32 v19, v22, v19
	v_fma_f32 v22, 0x3f62ad3f, v9, -v63
	v_add_f32_e32 v14, v17, v14
	v_mul_f32_e32 v17, 0x3e750f2a, v26
	v_add_f32_e32 v15, v24, v15
	v_add_f32_e32 v18, v18, v62
	v_fmac_f32_e32 v55, 0x3f62ad3f, v10
	v_mul_f32_e32 v62, 0x3f52af12, v25
	v_fmamk_f32 v24, v5, 0xbf788fa5, v17
	v_mul_f32_e32 v63, 0x3f52af12, v4
	v_add_f32_e32 v19, v22, v19
	v_fma_f32 v22, 0x3df6dbef, v7, -v67
	v_add_f32_e32 v18, v55, v18
	v_fmac_f32_e32 v64, 0x3df6dbef, v11
	v_add_f32_e32 v24, v24, v14
	v_fma_f32 v14, 0x3f116cb1, v6, -v62
	v_fmamk_f32 v55, v3, 0x3f116cb1, v63
	v_add_f32_e32 v19, v22, v19
	v_fma_f32 v17, 0xbf788fa5, v5, -v17
	v_mul_f32_e32 v22, 0x3f7e222b, v70
	v_fma_f32 v65, 0xbf3f9e67, v3, -v118
	v_add_f32_e32 v18, v64, v18
	v_fmac_f32_e32 v68, 0xbf788fa5, v2
	v_add_f32_e32 v14, v14, v15
	v_add_f32_e32 v15, v55, v24
	;; [unrolled: 1-line block ×3, first 2 shown]
	v_fma_f32 v19, 0x3df6dbef, v12, -v22
	v_mul_f32_e32 v24, 0x3f7e222b, v32
	v_mul_f32_e32 v55, 0xbf52af12, v73
	v_add_f32_e32 v1, v65, v1
	v_add_f32_e32 v18, v68, v18
	v_fmac_f32_e32 v62, 0x3f116cb1, v6
	v_add_f32_e32 v19, v19, v16
	v_fmamk_f32 v64, v13, 0x3df6dbef, v24
	v_fma_f32 v65, 0x3f116cb1, v10, -v55
	v_mul_f32_e32 v66, 0xbf52af12, v30
	v_mul_f32_e32 v67, 0x3e750f2a, v29
	v_fma_f32 v63, 0x3f116cb1, v3, -v63
	v_add_f32_e32 v16, v62, v18
	v_add_f32_e32 v18, v64, v34
	;; [unrolled: 1-line block ×3, first 2 shown]
	v_fmamk_f32 v34, v9, 0x3f116cb1, v66
	v_fma_f32 v62, 0xbf788fa5, v11, -v67
	v_mul_f32_e32 v64, 0x3e750f2a, v8
	v_mul_f32_e32 v65, 0x3eedf032, v89
	v_add_f32_e32 v17, v63, v17
	v_add_f32_e32 v18, v34, v18
	;; [unrolled: 1-line block ×3, first 2 shown]
	v_fmamk_f32 v34, v7, 0xbf788fa5, v64
	v_fma_f32 v62, 0x3f62ad3f, v2, -v65
	v_mul_f32_e32 v63, 0x3eedf032, v26
	v_mul_f32_e32 v68, 0xbf6f5d39, v25
	;; [unrolled: 1-line block ×3, first 2 shown]
	v_add_f32_e32 v18, v34, v18
	v_add_f32_e32 v19, v62, v19
	v_fmamk_f32 v34, v5, 0x3f62ad3f, v63
	v_fma_f32 v62, 0xbeb58ec6, v6, -v68
	v_fma_f32 v70, 0x3f62ad3f, v12, -v69
	v_mul_f32_e32 v32, 0x3eedf032, v32
	v_mul_f32_e32 v71, 0xbf29c268, v73
	v_add_f32_e32 v34, v34, v18
	v_add_f32_e32 v18, v62, v19
	;; [unrolled: 1-line block ×3, first 2 shown]
	v_fmamk_f32 v33, v13, 0x3f62ad3f, v32
	v_fma_f32 v62, 0xbf3f9e67, v10, -v71
	v_mul_f32_e32 v30, 0xbf29c268, v30
	v_mul_f32_e32 v29, 0x3f52af12, v29
	v_fmac_f32_e32 v69, 0x3f62ad3f, v12
	v_mul_f32_e32 v70, 0xbf6f5d39, v4
	v_add_f32_e32 v33, v33, v35
	v_add_f32_e32 v19, v62, v19
	v_fmamk_f32 v35, v9, 0xbf3f9e67, v30
	v_fma_f32 v62, 0x3f116cb1, v11, -v29
	v_mul_f32_e32 v8, 0x3f52af12, v8
	v_fma_f32 v32, 0x3f62ad3f, v13, -v32
	v_add_f32_e32 v27, v69, v27
	v_fmac_f32_e32 v71, 0xbf3f9e67, v10
	v_fmac_f32_e32 v22, 0x3df6dbef, v12
	v_fma_f32 v12, 0x3df6dbef, v13, -v24
	v_fmamk_f32 v72, v3, 0xbeb58ec6, v70
	v_add_f32_e32 v33, v35, v33
	v_add_f32_e32 v35, v62, v19
	v_fmamk_f32 v62, v7, 0x3f116cb1, v8
	v_mul_f32_e32 v26, 0xbf6f5d39, v26
	v_add_f32_e32 v23, v32, v23
	v_fma_f32 v30, 0xbf3f9e67, v9, -v30
	v_add_f32_e32 v13, v71, v27
	v_fmac_f32_e32 v29, 0x3f116cb1, v11
	v_add_f32_e32 v22, v22, v31
	v_add_f32_e32 v12, v12, v21
	v_fmac_f32_e32 v55, 0x3f116cb1, v10
	v_fma_f32 v9, 0x3f116cb1, v9, -v66
	v_mul_f32_e32 v73, 0xbf6f5d39, v89
	v_add_f32_e32 v19, v72, v34
	v_add_f32_e32 v33, v62, v33
	v_fmamk_f32 v34, v5, 0xbeb58ec6, v26
	v_add_f32_e32 v23, v30, v23
	v_fma_f32 v8, 0x3f116cb1, v7, -v8
	v_add_f32_e32 v10, v29, v13
	v_add_f32_e32 v13, v55, v22
	;; [unrolled: 1-line block ×3, first 2 shown]
	v_fmac_f32_e32 v67, 0xbf788fa5, v11
	v_fma_f32 v7, 0xbf788fa5, v7, -v64
	v_fma_f32 v86, 0xbeb58ec6, v2, -v73
	v_mul_f32_e32 v25, 0x3f7e222b, v25
	v_add_f32_e32 v33, v34, v33
	v_mul_f32_e32 v34, 0x3f7e222b, v4
	v_fmac_f32_e32 v73, 0xbeb58ec6, v2
	v_add_f32_e32 v8, v8, v23
	v_fma_f32 v11, 0xbeb58ec6, v5, -v26
	v_add_f32_e32 v12, v67, v13
	v_add_f32_e32 v7, v7, v9
	v_fmac_f32_e32 v65, 0x3f62ad3f, v2
	v_fma_f32 v2, 0x3f62ad3f, v5, -v63
	v_add_f32_e32 v35, v86, v35
	v_fma_f32 v62, 0x3df6dbef, v6, -v25
	v_fmamk_f32 v32, v3, 0x3df6dbef, v34
	v_add_f32_e32 v10, v73, v10
	v_add_f32_e32 v8, v11, v8
	v_fmac_f32_e32 v25, 0x3df6dbef, v6
	v_fma_f32 v9, 0x3df6dbef, v3, -v34
	v_add_f32_e32 v11, v65, v12
	v_add_f32_e32 v7, v2, v7
	v_fmac_f32_e32 v68, 0xbeb58ec6, v6
	v_fma_f32 v12, 0xbeb58ec6, v3, -v70
	v_fma_f32 v20, 0xbf788fa5, v3, -v92
	v_add_f32_e32 v4, v62, v35
	v_add_f32_e32 v5, v32, v33
	;; [unrolled: 1-line block ×6, first 2 shown]
	v_add_nc_u32_e32 v8, 0x800, v52
	v_add_f32_e32 v55, v20, v28
	v_lshl_add_u32 v87, v50, 3, 0
	ds_write2_b64 v52, v[14:15], v[18:19] offset0:104 offset1:130
	ds_write2_b64 v52, v[4:5], v[2:3] offset0:156 offset1:182
	;; [unrolled: 1-line block ×4, first 2 shown]
	ds_write_b64 v52, v[54:55] offset:2496
	s_waitcnt lgkmcnt(0)
	s_barrier
	buffer_gl0_inv
	v_lshl_add_u32 v86, v48, 3, 0
	ds_read_b64 v[72:73], v74
	ds_read_b64 v[68:69], v79
	;; [unrolled: 1-line block ×6, first 2 shown]
	ds_read2_b64 v[24:27], v84 offset0:118 offset1:170
	ds_read2_b64 v[28:31], v58 offset0:82 offset1:134
	;; [unrolled: 1-line block ×9, first 2 shown]
	v_sub_nc_u32_e32 v37, 0, v61
                                        ; implicit-def: $vgpr59
                                        ; implicit-def: $vgpr61
	v_add_nc_u32_e32 v84, v60, v37
	s_and_saveexec_b32 s1, s0
	s_cbranch_execz .LBB0_15
; %bb.14:
	ds_read_b64 v[54:55], v74 offset:5200
	ds_read_b64 v[58:59], v74 offset:7904
	ds_read_b64 v[56:57], v84
	ds_read_b64 v[60:61], v74 offset:10608
	v_mov_b32_e32 v85, v47
.LBB0_15:
	s_or_b32 exec_lo, exec_lo, s1
	v_mul_u32_u24_e32 v37, 3, v36
	v_mul_i32_i24_e32 v52, 3, v40
	v_lshlrev_b32_e32 v37, 3, v37
	v_lshlrev_b64 v[88:89], 3, v[52:53]
	v_mul_i32_i24_e32 v52, 3, v51
	v_add_co_u32 v37, s1, s12, v37
	v_add_co_ci_u32_e64 v41, null, s13, 0, s1
	v_add_co_u32 v96, s1, s12, v88
	v_add_co_ci_u32_e64 v97, s1, s13, v89, s1
	v_add_co_u32 v88, s1, 0x800, v37
	v_add_co_ci_u32_e64 v89, s1, 0, v41, s1
	;; [unrolled: 2-line block ×3, first 2 shown]
	v_add_co_u32 v94, s1, 0x800, v96
	v_lshlrev_b64 v[98:99], 3, v[52:53]
	v_add_co_ci_u32_e64 v95, s1, 0, v97, s1
	v_add_co_u32 v96, s1, 0xa80, v96
	v_add_co_ci_u32_e64 v97, s1, 0, v97, s1
	v_add_co_u32 v37, s1, s12, v98
	v_mul_i32_i24_e32 v52, 3, v50
	v_add_co_ci_u32_e64 v41, s1, s13, v99, s1
	s_clause 0x3
	global_load_dwordx4 v[88:91], v[88:89], off offset:640
	global_load_dwordx2 v[112:113], v[92:93], off offset:16
	global_load_dwordx4 v[92:95], v[94:95], off offset:640
	global_load_dwordx2 v[114:115], v[96:97], off offset:16
	v_add_co_u32 v96, s1, 0x800, v37
	v_lshlrev_b64 v[102:103], 3, v[52:53]
	v_add_co_ci_u32_e64 v97, s1, 0, v41, s1
	v_add_co_u32 v100, s1, 0xa80, v37
	v_add_co_ci_u32_e64 v101, s1, 0, v41, s1
	v_add_co_u32 v37, s1, s12, v102
	v_mul_i32_i24_e32 v52, 3, v49
	v_add_co_ci_u32_e64 v41, s1, s13, v103, s1
	s_clause 0x1
	global_load_dwordx4 v[96:99], v[96:97], off offset:640
	global_load_dwordx2 v[116:117], v[100:101], off offset:16
	v_add_co_u32 v100, s1, 0x800, v37
	v_lshlrev_b64 v[106:107], 3, v[52:53]
	v_add_co_ci_u32_e64 v101, s1, 0, v41, s1
	v_add_co_u32 v104, s1, 0xa80, v37
	v_add_co_ci_u32_e64 v105, s1, 0, v41, s1
	v_add_co_u32 v37, s1, s12, v106
	v_mul_i32_i24_e32 v52, 3, v48
	v_add_co_ci_u32_e64 v41, s1, s13, v107, s1
	s_clause 0x1
	global_load_dwordx4 v[100:103], v[100:101], off offset:640
	global_load_dwordx2 v[118:119], v[104:105], off offset:16
	v_add_co_u32 v104, s1, 0x800, v37
	v_lshlrev_b64 v[52:53], 3, v[52:53]
	v_add_co_ci_u32_e64 v105, s1, 0, v41, s1
	v_add_co_u32 v108, s1, 0xa80, v37
	v_add_co_ci_u32_e64 v109, s1, 0, v41, s1
	v_add_co_u32 v37, s1, s12, v52
	v_add_co_ci_u32_e64 v41, s1, s13, v53, s1
	s_clause 0x1
	global_load_dwordx4 v[104:107], v[104:105], off offset:640
	global_load_dwordx2 v[120:121], v[108:109], off offset:16
	v_add_co_u32 v52, s1, 0x800, v37
	v_add_co_ci_u32_e64 v53, s1, 0, v41, s1
	v_add_co_u32 v122, s1, 0xa80, v37
	v_add_co_ci_u32_e64 v123, s1, 0, v41, s1
	s_clause 0x1
	global_load_dwordx4 v[108:111], v[52:53], off offset:640
	global_load_dwordx2 v[52:53], v[122:123], off offset:16
	s_waitcnt vmcnt(0) lgkmcnt(0)
	s_barrier
	buffer_gl0_inv
	v_mul_f32_e32 v122, v113, v25
	v_mul_f32_e32 v37, v89, v29
	;; [unrolled: 1-line block ×12, first 2 shown]
	v_fma_f32 v28, v88, v28, -v37
	v_fmac_f32_e32 v41, v88, v29
	v_fma_f32 v29, v90, v32, -v89
	v_fmac_f32_e32 v91, v90, v33
	;; [unrolled: 2-line block ×6, first 2 shown]
	v_mul_f32_e32 v27, v97, v13
	v_mul_f32_e32 v31, v97, v12
	;; [unrolled: 1-line block ×6, first 2 shown]
	v_sub_f32_e32 v29, v72, v29
	v_sub_f32_e32 v37, v73, v91
	;; [unrolled: 1-line block ×4, first 2 shown]
	v_fma_f32 v27, v96, v12, -v27
	v_fmac_f32_e32 v31, v96, v13
	v_fma_f32 v16, v16, v98, -v32
	v_fmac_f32_e32 v33, v17, v98
	;; [unrolled: 2-line block ×3, first 2 shown]
	v_mul_f32_e32 v20, v15, v101
	v_mul_f32_e32 v21, v14, v101
	;; [unrolled: 1-line block ×6, first 2 shown]
	v_sub_f32_e32 v30, v70, v30
	v_sub_f32_e32 v91, v71, v95
	;; [unrolled: 1-line block ×4, first 2 shown]
	v_fma_f32 v72, v72, 2.0, -v29
	v_fma_f32 v73, v73, 2.0, -v37
	;; [unrolled: 1-line block ×4, first 2 shown]
	v_sub_f32_e32 v12, v29, v88
	v_add_f32_e32 v13, v37, v24
	v_fma_f32 v20, v14, v100, -v20
	v_fmac_f32_e32 v21, v15, v100
	v_fma_f32 v24, v18, v102, -v32
	v_fmac_f32_e32 v34, v19, v102
	;; [unrolled: 2-line block ×3, first 2 shown]
	v_mul_f32_e32 v23, v1, v105
	v_mul_f32_e32 v32, v0, v105
	;; [unrolled: 1-line block ×6, first 2 shown]
	v_fma_f32 v70, v70, 2.0, -v30
	v_fma_f32 v25, v25, 2.0, -v26
	;; [unrolled: 1-line block ×3, first 2 shown]
	v_sub_f32_e32 v14, v30, v92
	v_add_f32_e32 v15, v91, v26
	v_sub_f32_e32 v26, v68, v16
	v_sub_f32_e32 v33, v69, v33
	;; [unrolled: 1-line block ×4, first 2 shown]
	v_fma_f32 v71, v71, 2.0, -v91
	v_sub_f32_e32 v16, v72, v28
	v_sub_f32_e32 v17, v73, v41
	v_fma_f32 v18, v29, 2.0, -v12
	v_fma_f32 v19, v37, 2.0, -v13
	v_fma_f32 v23, v0, v104, -v23
	v_fmac_f32_e32 v32, v1, v104
	v_fma_f32 v28, v4, v106, -v88
	v_fmac_f32_e32 v89, v5, v106
	;; [unrolled: 2-line block ×3, first 2 shown]
	v_mul_f32_e32 v37, v3, v109
	v_mul_f32_e32 v41, v2, v109
	;; [unrolled: 1-line block ×6, first 2 shown]
	v_sub_f32_e32 v0, v70, v25
	v_fma_f32 v4, v30, 2.0, -v14
	v_fma_f32 v25, v68, 2.0, -v26
	v_fma_f32 v30, v69, 2.0, -v33
	v_fma_f32 v27, v27, 2.0, -v92
	v_fma_f32 v31, v31, 2.0, -v35
	v_sub_f32_e32 v8, v26, v35
	v_sub_f32_e32 v24, v66, v24
	;; [unrolled: 1-line block ×5, first 2 shown]
	ds_write_b64 v74, v[12:13] offset:8112
	v_sub_f32_e32 v1, v71, v93
	v_fma_f32 v12, v72, 2.0, -v16
	v_fma_f32 v13, v73, 2.0, -v17
	ds_write_b64 v74, v[18:19] offset:2704
	ds_write_b64 v74, v[16:17] offset:5408
	v_fma_f32 v18, v2, v108, -v37
	v_fmac_f32_e32 v41, v3, v108
	v_fma_f32 v19, v6, v110, -v88
	v_fmac_f32_e32 v94, v7, v110
	;; [unrolled: 2-line block ×3, first 2 shown]
	v_sub_f32_e32 v6, v25, v27
	v_sub_f32_e32 v7, v30, v31
	v_fma_f32 v10, v26, 2.0, -v8
	v_fma_f32 v26, v66, 2.0, -v24
	;; [unrolled: 1-line block ×5, first 2 shown]
	v_sub_f32_e32 v16, v24, v35
	v_add_f32_e32 v17, v34, v22
	v_sub_f32_e32 v22, v64, v28
	v_sub_f32_e32 v28, v65, v89
	;; [unrolled: 1-line block ×4, first 2 shown]
	v_fma_f32 v5, v91, 2.0, -v15
	v_add_f32_e32 v9, v33, v92
	v_fma_f32 v2, v70, 2.0, -v0
	v_fma_f32 v3, v71, 2.0, -v1
	ds_write_b64 v74, v[12:13]
	ds_write_b64 v80, v[4:5] offset:2704
	ds_write_b64 v80, v[0:1] offset:5408
	;; [unrolled: 1-line block ×3, first 2 shown]
	v_fma_f32 v0, v25, 2.0, -v6
	v_fma_f32 v1, v30, 2.0, -v7
	v_sub_f32_e32 v4, v26, v20
	v_sub_f32_e32 v5, v27, v21
	v_fma_f32 v12, v24, 2.0, -v16
	v_fma_f32 v20, v64, 2.0, -v22
	;; [unrolled: 1-line block ×5, first 2 shown]
	v_sub_f32_e32 v14, v22, v31
	v_add_f32_e32 v15, v28, v29
	v_sub_f32_e32 v19, v62, v19
	v_sub_f32_e32 v25, v63, v94
	;; [unrolled: 1-line block ×4, first 2 shown]
	v_fma_f32 v11, v33, 2.0, -v9
	ds_write_b64 v80, v[2:3]
	ds_write_b64 v79, v[10:11] offset:2704
	ds_write_b64 v79, v[6:7] offset:5408
	;; [unrolled: 1-line block ×3, first 2 shown]
	v_sub_f32_e32 v6, v20, v23
	v_sub_f32_e32 v7, v21, v24
	v_fma_f32 v8, v22, 2.0, -v14
	v_fma_f32 v22, v62, 2.0, -v19
	;; [unrolled: 1-line block ×6, first 2 shown]
	v_sub_f32_e32 v10, v19, v30
	v_add_f32_e32 v11, v25, v29
	v_fma_f32 v2, v26, 2.0, -v4
	v_fma_f32 v3, v27, 2.0, -v5
	ds_write_b64 v79, v[0:1]
	ds_write_b64 v87, v[12:13] offset:2704
	ds_write_b64 v87, v[4:5] offset:5408
	;; [unrolled: 1-line block ×3, first 2 shown]
	v_sub_f32_e32 v4, v22, v18
	v_sub_f32_e32 v5, v23, v24
	v_fma_f32 v9, v28, 2.0, -v15
	v_fma_f32 v0, v20, 2.0, -v6
	;; [unrolled: 1-line block ×5, first 2 shown]
	ds_write_b64 v87, v[2:3]
	ds_write_b64 v78, v[8:9] offset:2704
	ds_write_b64 v78, v[6:7] offset:5408
	v_fma_f32 v2, v22, 2.0, -v4
	v_fma_f32 v3, v23, 2.0, -v5
	ds_write_b64 v78, v[14:15] offset:8112
	ds_write_b64 v78, v[0:1]
	ds_write_b64 v86, v[12:13] offset:2704
	ds_write_b64 v86, v[4:5] offset:5408
	ds_write_b64 v86, v[2:3]
	ds_write_b64 v86, v[10:11] offset:8112
	s_and_saveexec_b32 s1, s0
	s_cbranch_execz .LBB0_17
; %bb.16:
	v_mul_i32_i24_e32 v0, 3, v85
	v_mov_b32_e32 v1, 0
	v_lshlrev_b64 v[0:1], 3, v[0:1]
	v_add_co_u32 v2, s0, s12, v0
	v_add_co_ci_u32_e64 v3, s0, s13, v1, s0
	v_add_co_u32 v0, s0, 0x800, v2
	v_add_co_ci_u32_e64 v1, s0, 0, v3, s0
	;; [unrolled: 2-line block ×3, first 2 shown]
	s_clause 0x1
	global_load_dwordx4 v[0:3], v[0:1], off offset:640
	global_load_dwordx2 v[4:5], v[4:5], off offset:16
	s_waitcnt vmcnt(1)
	v_mul_f32_e32 v6, v58, v3
	v_mul_f32_e32 v7, v55, v1
	s_waitcnt vmcnt(0)
	v_mul_f32_e32 v8, v61, v5
	v_mul_f32_e32 v1, v54, v1
	;; [unrolled: 1-line block ×4, first 2 shown]
	v_fmac_f32_e32 v6, v59, v2
	v_fma_f32 v7, v54, v0, -v7
	v_fmac_f32_e32 v1, v55, v0
	v_fmac_f32_e32 v5, v61, v4
	v_fma_f32 v0, v58, v2, -v3
	v_fma_f32 v2, v60, v4, -v8
	v_sub_f32_e32 v4, v57, v6
	v_sub_f32_e32 v3, v1, v5
	;; [unrolled: 1-line block ×4, first 2 shown]
	v_fma_f32 v8, v57, 2.0, -v4
	v_fma_f32 v2, v1, 2.0, -v3
	;; [unrolled: 1-line block ×4, first 2 shown]
	v_add_f32_e32 v1, v4, v0
	v_sub_f32_e32 v0, v6, v3
	v_sub_f32_e32 v3, v8, v2
	;; [unrolled: 1-line block ×3, first 2 shown]
	v_fma_f32 v5, v4, 2.0, -v1
	v_fma_f32 v4, v6, 2.0, -v0
	;; [unrolled: 1-line block ×4, first 2 shown]
	ds_write_b64 v74, v[4:5] offset:5200
	ds_write_b64 v74, v[2:3] offset:7904
	;; [unrolled: 1-line block ×4, first 2 shown]
.LBB0_17:
	s_or_b32 exec_lo, exec_lo, s1
	s_waitcnt lgkmcnt(0)
	s_barrier
	buffer_gl0_inv
	ds_read_b64 v[2:3], v74
	v_lshlrev_b32_e32 v0, 3, v36
	s_add_u32 s1, s12, 0x2a30
	s_addc_u32 s4, s13, 0
	s_mov_b32 s5, exec_lo
                                        ; implicit-def: $vgpr1
                                        ; implicit-def: $vgpr8
	v_sub_nc_u32_e32 v4, 0, v0
	v_cmpx_ne_u32_e32 0, v36
	s_xor_b32 s5, exec_lo, s5
	s_cbranch_execz .LBB0_19
; %bb.18:
	v_mov_b32_e32 v37, 0
	v_lshlrev_b64 v[0:1], 3, v[36:37]
	v_add_co_u32 v0, s0, s1, v0
	v_add_co_ci_u32_e64 v1, s0, s4, v1, s0
	global_load_dwordx2 v[5:6], v[0:1], off
	ds_read_b64 v[0:1], v4 offset:10816
	s_waitcnt lgkmcnt(0)
	v_sub_f32_e32 v7, v2, v0
	v_add_f32_e32 v8, v1, v3
	v_sub_f32_e32 v1, v3, v1
	v_add_f32_e32 v0, v0, v2
	v_mul_f32_e32 v3, 0.5, v7
	v_mul_f32_e32 v2, 0.5, v8
	;; [unrolled: 1-line block ×3, first 2 shown]
	s_waitcnt vmcnt(0)
	v_mul_f32_e32 v7, v6, v3
	v_fma_f32 v8, v2, v6, v1
	v_fma_f32 v1, v2, v6, -v1
	v_fma_f32 v9, 0.5, v0, v7
	v_fma_f32 v0, v0, 0.5, -v7
	v_fma_f32 v8, -v5, v3, v8
	v_fma_f32 v1, -v5, v3, v1
	v_fmac_f32_e32 v9, v5, v2
	v_fma_f32 v0, -v5, v2, v0
                                        ; implicit-def: $vgpr2_vgpr3
	ds_write_b32 v74, v9
.LBB0_19:
	s_or_saveexec_b32 s0, s5
	v_sub_nc_u32_e32 v7, 0, v83
	v_sub_nc_u32_e32 v6, 0, v81
	;; [unrolled: 1-line block ×3, first 2 shown]
	s_xor_b32 exec_lo, exec_lo, s0
	s_cbranch_execz .LBB0_21
; %bb.20:
	v_mov_b32_e32 v8, 0
	s_waitcnt lgkmcnt(0)
	v_add_f32_e32 v9, v2, v3
	v_sub_f32_e32 v0, v2, v3
	ds_read_b32 v1, v8 offset:5412
	s_waitcnt lgkmcnt(0)
	v_xor_b32_e32 v2, 0x80000000, v1
	v_mov_b32_e32 v1, v8
	ds_write_b32 v74, v9
	ds_write_b32 v8, v2 offset:5412
.LBB0_21:
	s_or_b32 exec_lo, exec_lo, s0
	v_mov_b32_e32 v41, 0
	v_add_nc_u32_e32 v7, v75, v7
	s_waitcnt lgkmcnt(0)
	v_lshlrev_b64 v[2:3], 3, v[40:41]
	v_mov_b32_e32 v52, v41
	v_add_nc_u32_e32 v40, 0x16c, v36
	v_lshlrev_b64 v[9:10], 3, v[51:52]
	v_add_co_u32 v2, s0, s1, v2
	v_add_co_ci_u32_e64 v3, s0, s4, v3, s0
	v_mov_b32_e32 v51, v41
	v_add_co_u32 v9, s0, s1, v9
	global_load_dwordx2 v[2:3], v[2:3], off
	v_add_co_ci_u32_e64 v10, s0, s4, v10, s0
	v_lshlrev_b64 v[11:12], 3, v[50:51]
	v_mov_b32_e32 v50, v41
	v_lshlrev_b64 v[19:20], 3, v[40:41]
	global_load_dwordx2 v[9:10], v[9:10], off
	v_add_nc_u32_e32 v40, 0x1d4, v36
	v_add_co_u32 v11, s0, s1, v11
	v_add_co_ci_u32_e64 v12, s0, s4, v12, s0
	v_lshlrev_b64 v[13:14], 3, v[49:50]
	v_mov_b32_e32 v49, v41
	global_load_dwordx2 v[11:12], v[11:12], off
	v_add_co_u32 v13, s0, s1, v13
	v_add_co_ci_u32_e64 v14, s0, s4, v14, s0
	v_lshlrev_b64 v[15:16], 3, v[48:49]
	v_mov_b32_e32 v48, v41
	global_load_dwordx2 v[13:14], v[13:14], off
	v_add_co_u32 v15, s0, s1, v15
	v_add_co_ci_u32_e64 v16, s0, s4, v16, s0
	v_lshlrev_b64 v[17:18], 3, v[47:48]
	v_mov_b32_e32 v47, v41
	global_load_dwordx2 v[15:16], v[15:16], off
	v_add_co_u32 v17, s0, s1, v17
	v_add_co_ci_u32_e64 v18, s0, s4, v18, s0
	v_add_co_u32 v19, s0, s1, v19
	v_add_co_ci_u32_e64 v20, s0, s4, v20, s0
	global_load_dwordx2 v[17:18], v[17:18], off
	ds_write_b32 v74, v8 offset:4
	ds_write_b64 v4, v[0:1] offset:10816
	ds_read_b64 v[0:1], v80
	ds_read_b64 v[21:22], v4 offset:10400
	global_load_dwordx2 v[19:20], v[19:20], off
	s_waitcnt lgkmcnt(0)
	v_sub_f32_e32 v8, v0, v21
	v_add_f32_e32 v23, v1, v22
	v_sub_f32_e32 v1, v1, v22
	v_add_f32_e32 v21, v0, v21
	v_mul_f32_e32 v8, 0.5, v8
	v_mul_f32_e32 v23, 0.5, v23
	;; [unrolled: 1-line block ×3, first 2 shown]
	s_waitcnt vmcnt(6)
	v_mul_f32_e32 v22, v3, v8
	v_fma_f32 v24, v23, v3, v1
	v_fma_f32 v3, v23, v3, -v1
	v_fma_f32 v0, 0.5, v21, v22
	v_fma_f32 v25, v21, 0.5, -v22
	v_lshlrev_b64 v[21:22], 3, v[46:47]
	v_fma_f32 v1, -v2, v8, v24
	v_fma_f32 v3, -v2, v8, v3
	v_fmac_f32_e32 v0, v2, v23
	v_fma_f32 v2, -v2, v23, v25
	v_mov_b32_e32 v46, v41
	v_add_co_u32 v21, s0, s1, v21
	v_add_co_ci_u32_e64 v22, s0, s4, v22, s0
	ds_write_b64 v80, v[0:1]
	ds_write_b64 v4, v[2:3] offset:10400
	ds_read_b64 v[0:1], v79
	ds_read_b64 v[2:3], v4 offset:9984
	global_load_dwordx2 v[21:22], v[21:22], off
	s_waitcnt lgkmcnt(0)
	v_sub_f32_e32 v8, v0, v2
	v_add_f32_e32 v23, v1, v3
	v_sub_f32_e32 v1, v1, v3
	v_add_f32_e32 v2, v0, v2
	v_mul_f32_e32 v8, 0.5, v8
	v_mul_f32_e32 v23, 0.5, v23
	;; [unrolled: 1-line block ×3, first 2 shown]
	s_waitcnt vmcnt(6)
	v_mul_f32_e32 v3, v10, v8
	v_fma_f32 v24, v23, v10, v1
	v_fma_f32 v10, v23, v10, -v1
	v_fma_f32 v0, 0.5, v2, v3
	v_fma_f32 v25, v2, 0.5, -v3
	v_lshlrev_b64 v[2:3], 3, v[40:41]
	v_fma_f32 v1, -v9, v8, v24
	v_fma_f32 v10, -v9, v8, v10
	v_fmac_f32_e32 v0, v9, v23
	v_fma_f32 v9, -v9, v23, v25
	ds_write_b64 v79, v[0:1]
	ds_write_b64 v4, v[9:10] offset:9984
	v_add_co_u32 v2, s0, s1, v2
	v_add_co_ci_u32_e64 v3, s0, s4, v3, s0
	ds_read_b64 v[0:1], v87
	ds_read_b64 v[8:9], v4 offset:9568
	v_add_nc_u32_e32 v40, 0x23c, v36
	global_load_dwordx2 v[2:3], v[2:3], off
	s_waitcnt lgkmcnt(0)
	v_sub_f32_e32 v10, v0, v8
	v_add_f32_e32 v23, v1, v9
	v_sub_f32_e32 v1, v1, v9
	v_add_f32_e32 v8, v0, v8
	v_mul_f32_e32 v10, 0.5, v10
	v_mul_f32_e32 v23, 0.5, v23
	;; [unrolled: 1-line block ×3, first 2 shown]
	s_waitcnt vmcnt(6)
	v_mul_f32_e32 v9, v12, v10
	v_fma_f32 v24, v23, v12, v1
	v_fma_f32 v12, v23, v12, -v1
	v_fma_f32 v0, 0.5, v8, v9
	v_fma_f32 v25, v8, 0.5, -v9
	v_lshlrev_b64 v[8:9], 3, v[45:46]
	v_fma_f32 v1, -v11, v10, v24
	v_fma_f32 v12, -v11, v10, v12
	v_fmac_f32_e32 v0, v11, v23
	v_fma_f32 v11, -v11, v23, v25
	ds_write_b64 v87, v[0:1]
	ds_write_b64 v4, v[11:12] offset:9568
	v_add_co_u32 v8, s0, s1, v8
	v_add_co_ci_u32_e64 v9, s0, s4, v9, s0
	ds_read_b64 v[0:1], v78
	ds_read_b64 v[10:11], v4 offset:9152
	v_mov_b32_e32 v45, v41
	global_load_dwordx2 v[8:9], v[8:9], off
	s_waitcnt lgkmcnt(0)
	v_sub_f32_e32 v12, v0, v10
	v_add_f32_e32 v23, v1, v11
	v_sub_f32_e32 v1, v1, v11
	v_add_f32_e32 v10, v0, v10
	v_mul_f32_e32 v12, 0.5, v12
	v_mul_f32_e32 v23, 0.5, v23
	;; [unrolled: 1-line block ×3, first 2 shown]
	s_waitcnt vmcnt(6)
	v_mul_f32_e32 v11, v14, v12
	v_fma_f32 v24, v23, v14, v1
	v_fma_f32 v14, v23, v14, -v1
	v_fma_f32 v0, 0.5, v10, v11
	v_fma_f32 v25, v10, 0.5, -v11
	v_lshlrev_b64 v[10:11], 3, v[40:41]
	v_fma_f32 v1, -v13, v12, v24
	v_fma_f32 v14, -v13, v12, v14
	v_fmac_f32_e32 v0, v13, v23
	v_fma_f32 v13, -v13, v23, v25
	ds_write_b64 v78, v[0:1]
	ds_write_b64 v4, v[13:14] offset:9152
	v_add_co_u32 v10, s0, s1, v10
	v_add_co_ci_u32_e64 v11, s0, s4, v11, s0
	ds_read_b64 v[0:1], v86
	ds_read_b64 v[12:13], v4 offset:8736
	global_load_dwordx2 v[10:11], v[10:11], off
	s_waitcnt lgkmcnt(0)
	v_add_f32_e32 v23, v1, v13
	v_sub_f32_e32 v1, v1, v13
	v_sub_f32_e32 v14, v0, v12
	v_add_f32_e32 v24, v0, v12
	v_mul_f32_e32 v23, 0.5, v23
	v_mul_f32_e32 v13, 0.5, v1
	v_lshlrev_b64 v[0:1], 3, v[44:45]
	v_mul_f32_e32 v14, 0.5, v14
	s_waitcnt vmcnt(6)
	v_fma_f32 v26, v23, v16, v13
	v_add_co_u32 v0, s0, s1, v0
	v_add_co_ci_u32_e64 v1, s0, s4, v1, s0
	v_mul_f32_e32 v25, v16, v14
	v_fma_f32 v16, v23, v16, -v13
	v_fma_f32 v13, -v15, v14, v26
	global_load_dwordx2 v[0:1], v[0:1], off
	v_fma_f32 v12, 0.5, v24, v25
	v_fma_f32 v24, v24, 0.5, -v25
	v_fma_f32 v16, -v15, v14, v16
	v_fmac_f32_e32 v12, v15, v23
	v_fma_f32 v15, -v15, v23, v24
	ds_write_b64 v86, v[12:13]
	ds_write_b64 v4, v[15:16] offset:8736
	ds_read_b64 v[12:13], v84
	ds_read_b64 v[14:15], v4 offset:8320
	s_waitcnt lgkmcnt(0)
	v_sub_f32_e32 v16, v12, v14
	v_add_f32_e32 v23, v13, v15
	v_sub_f32_e32 v13, v13, v15
	v_add_f32_e32 v14, v12, v14
	v_mul_f32_e32 v15, 0.5, v16
	v_mul_f32_e32 v16, 0.5, v23
	;; [unrolled: 1-line block ×3, first 2 shown]
	s_waitcnt vmcnt(6)
	v_mul_f32_e32 v23, v18, v15
	v_fma_f32 v24, v16, v18, v13
	v_fma_f32 v18, v16, v18, -v13
	v_fma_f32 v12, 0.5, v14, v23
	v_fma_f32 v14, v14, 0.5, -v23
	v_fma_f32 v13, -v17, v15, v24
	v_fma_f32 v15, -v17, v15, v18
	v_fmac_f32_e32 v12, v17, v16
	v_fma_f32 v14, -v17, v16, v14
	ds_write_b64 v84, v[12:13]
	ds_write_b64 v4, v[14:15] offset:8320
	ds_read_b64 v[12:13], v74 offset:2912
	ds_read_b64 v[14:15], v4 offset:7904
	s_waitcnt lgkmcnt(0)
	v_sub_f32_e32 v16, v12, v14
	v_add_f32_e32 v17, v13, v15
	v_sub_f32_e32 v13, v13, v15
	v_add_f32_e32 v14, v12, v14
	v_mul_f32_e32 v15, 0.5, v16
	v_mul_f32_e32 v16, 0.5, v17
	;; [unrolled: 1-line block ×3, first 2 shown]
	s_waitcnt vmcnt(5)
	v_mul_f32_e32 v17, v20, v15
	v_fma_f32 v18, v16, v20, v13
	v_fma_f32 v20, v16, v20, -v13
	v_fma_f32 v12, 0.5, v14, v17
	v_fma_f32 v14, v14, 0.5, -v17
	v_fma_f32 v13, -v19, v15, v18
	v_fma_f32 v15, -v19, v15, v20
	v_fmac_f32_e32 v12, v19, v16
	v_fma_f32 v14, -v19, v16, v14
	ds_write_b64 v74, v[12:13] offset:2912
	ds_write_b64 v4, v[14:15] offset:7904
	ds_read_b64 v[12:13], v7
	ds_read_b64 v[14:15], v4 offset:7488
	s_waitcnt lgkmcnt(0)
	v_sub_f32_e32 v16, v12, v14
	v_add_f32_e32 v17, v13, v15
	v_sub_f32_e32 v13, v13, v15
	v_add_f32_e32 v14, v12, v14
	v_mul_f32_e32 v15, 0.5, v16
	v_mul_f32_e32 v16, 0.5, v17
	v_mul_f32_e32 v13, 0.5, v13
	s_waitcnt vmcnt(4)
	v_mul_f32_e32 v17, v22, v15
	v_fma_f32 v18, v16, v22, v13
	v_fma_f32 v19, v16, v22, -v13
	v_fma_f32 v12, 0.5, v14, v17
	v_fma_f32 v14, v14, 0.5, -v17
	v_fma_f32 v13, -v21, v15, v18
	v_fma_f32 v15, -v21, v15, v19
	v_fmac_f32_e32 v12, v21, v16
	v_fma_f32 v14, -v21, v16, v14
	ds_write_b64 v7, v[12:13]
	ds_write_b64 v4, v[14:15] offset:7488
	ds_read_b64 v[12:13], v74 offset:3744
	ds_read_b64 v[14:15], v4 offset:7072
	s_waitcnt lgkmcnt(0)
	v_sub_f32_e32 v7, v12, v14
	v_add_f32_e32 v16, v13, v15
	v_sub_f32_e32 v13, v13, v15
	v_add_f32_e32 v14, v12, v14
	v_mul_f32_e32 v7, 0.5, v7
	v_mul_f32_e32 v15, 0.5, v16
	;; [unrolled: 1-line block ×3, first 2 shown]
	s_waitcnt vmcnt(3)
	v_mul_f32_e32 v16, v3, v7
	v_fma_f32 v17, v15, v3, v13
	v_fma_f32 v3, v15, v3, -v13
	v_fma_f32 v12, 0.5, v14, v16
	v_fma_f32 v14, v14, 0.5, -v16
	v_fma_f32 v13, -v2, v7, v17
	v_fma_f32 v3, -v2, v7, v3
	v_fmac_f32_e32 v12, v2, v15
	v_fma_f32 v2, -v2, v15, v14
	v_add_nc_u32_e32 v14, v77, v6
	ds_write_b64 v74, v[12:13] offset:3744
	ds_write_b64 v4, v[2:3] offset:7072
	ds_read_b64 v[2:3], v14
	ds_read_b64 v[6:7], v4 offset:6656
	s_waitcnt lgkmcnt(0)
	v_sub_f32_e32 v12, v2, v6
	v_add_f32_e32 v13, v3, v7
	v_sub_f32_e32 v3, v3, v7
	v_add_f32_e32 v6, v2, v6
	v_mul_f32_e32 v7, 0.5, v12
	v_mul_f32_e32 v12, 0.5, v13
	;; [unrolled: 1-line block ×3, first 2 shown]
	s_waitcnt vmcnt(2)
	v_mul_f32_e32 v13, v9, v7
	v_fma_f32 v15, v12, v9, v3
	v_fma_f32 v9, v12, v9, -v3
	v_fma_f32 v2, 0.5, v6, v13
	v_fma_f32 v6, v6, 0.5, -v13
	v_fma_f32 v3, -v8, v7, v15
	v_fma_f32 v7, -v8, v7, v9
	v_fmac_f32_e32 v2, v8, v12
	v_fma_f32 v6, -v8, v12, v6
	ds_write_b64 v14, v[2:3]
	ds_write_b64 v4, v[6:7] offset:6656
	ds_read_b64 v[2:3], v74 offset:4576
	ds_read_b64 v[6:7], v4 offset:6240
	s_waitcnt lgkmcnt(0)
	v_sub_f32_e32 v8, v2, v6
	v_add_f32_e32 v9, v3, v7
	v_sub_f32_e32 v3, v3, v7
	v_add_f32_e32 v6, v2, v6
	v_mul_f32_e32 v7, 0.5, v8
	v_mul_f32_e32 v8, 0.5, v9
	;; [unrolled: 1-line block ×3, first 2 shown]
	s_waitcnt vmcnt(1)
	v_mul_f32_e32 v9, v11, v7
	v_fma_f32 v12, v8, v11, v3
	v_fma_f32 v11, v8, v11, -v3
	v_fma_f32 v2, 0.5, v6, v9
	v_fma_f32 v6, v6, 0.5, -v9
	v_fma_f32 v3, -v10, v7, v12
	v_fma_f32 v7, -v10, v7, v11
	v_fmac_f32_e32 v2, v10, v8
	v_fma_f32 v6, -v10, v8, v6
	v_add_nc_u32_e32 v8, v76, v5
	ds_write_b64 v74, v[2:3] offset:4576
	ds_write_b64 v4, v[6:7] offset:6240
	ds_read_b64 v[2:3], v8
	ds_read_b64 v[5:6], v4 offset:5824
	s_waitcnt lgkmcnt(0)
	v_sub_f32_e32 v7, v2, v5
	v_add_f32_e32 v9, v3, v6
	v_sub_f32_e32 v3, v3, v6
	v_add_f32_e32 v2, v2, v5
	v_mul_f32_e32 v6, 0.5, v7
	v_mul_f32_e32 v7, 0.5, v9
	;; [unrolled: 1-line block ×3, first 2 shown]
	s_waitcnt vmcnt(0)
	v_mul_f32_e32 v5, v1, v6
	v_fma_f32 v9, v7, v1, v3
	v_fma_f32 v3, v7, v1, -v3
	v_fma_f32 v1, 0.5, v2, v5
	v_fma_f32 v5, v2, 0.5, -v5
	v_fma_f32 v2, -v0, v6, v9
	v_fma_f32 v6, -v0, v6, v3
	v_fmac_f32_e32 v1, v0, v7
	v_fma_f32 v5, -v0, v7, v5
	ds_write_b64 v8, v[1:2]
	ds_write_b64 v4, v[5:6] offset:5824
	s_waitcnt lgkmcnt(0)
	s_barrier
	buffer_gl0_inv
	s_and_saveexec_b32 s0, vcc_lo
	s_cbranch_execz .LBB0_24
; %bb.22:
	v_mul_lo_u32 v2, s3, v42
	v_mul_lo_u32 v3, s2, v43
	v_mad_u64_u32 v[0:1], null, s2, v42, 0
	v_lshl_add_u32 v24, v36, 3, 0
	v_mov_b32_e32 v37, v41
	v_lshlrev_b64 v[6:7], 3, v[38:39]
	v_add_nc_u32_e32 v40, 52, v36
	v_add_nc_u32_e32 v18, 0x800, v24
	v_add3_u32 v1, v1, v3, v2
	ds_read2_b64 v[2:5], v24 offset1:52
	v_lshlrev_b64 v[8:9], 3, v[36:37]
	v_lshlrev_b64 v[10:11], 3, v[40:41]
	v_add_nc_u32_e32 v40, 0x68, v36
	v_lshlrev_b64 v[0:1], 3, v[0:1]
	v_add_nc_u32_e32 v25, 0x2000, v24
	;; [unrolled: 2-line block ×3, first 2 shown]
	v_add_co_u32 v0, vcc_lo, s10, v0
	v_add_co_ci_u32_e32 v1, vcc_lo, s11, v1, vcc_lo
	v_add_co_u32 v0, vcc_lo, v0, v6
	v_add_co_ci_u32_e32 v1, vcc_lo, v1, v7, vcc_lo
	v_add_co_u32 v12, vcc_lo, v0, v8
	v_add_co_ci_u32_e32 v13, vcc_lo, v1, v9, vcc_lo
	ds_read2_b64 v[6:9], v24 offset0:104 offset1:156
	v_add_co_u32 v10, vcc_lo, v0, v10
	v_add_co_ci_u32_e32 v11, vcc_lo, v1, v11, vcc_lo
	s_waitcnt lgkmcnt(1)
	global_store_dwordx2 v[12:13], v[2:3], off
	global_store_dwordx2 v[10:11], v[4:5], off
	v_lshlrev_b64 v[2:3], 3, v[40:41]
	v_add_co_u32 v4, vcc_lo, v0, v14
	v_add_co_ci_u32_e32 v5, vcc_lo, v1, v15, vcc_lo
	v_add_nc_u32_e32 v40, 0xd0, v36
	v_add_co_u32 v2, vcc_lo, v0, v2
	v_add_co_ci_u32_e32 v3, vcc_lo, v1, v3, vcc_lo
	v_add_nc_u32_e32 v12, 0x400, v24
	v_lshlrev_b64 v[10:11], 3, v[40:41]
	v_add_nc_u32_e32 v40, 0x104, v36
	s_waitcnt lgkmcnt(0)
	global_store_dwordx2 v[4:5], v[6:7], off
	global_store_dwordx2 v[2:3], v[8:9], off
	ds_read2_b64 v[6:9], v18 offset0:56 offset1:108
	ds_read2_b64 v[2:5], v12 offset0:80 offset1:132
	v_lshlrev_b64 v[12:13], 3, v[40:41]
	v_add_nc_u32_e32 v40, 0x138, v36
	v_add_co_u32 v10, vcc_lo, v0, v10
	v_add_co_ci_u32_e32 v11, vcc_lo, v1, v11, vcc_lo
	v_lshlrev_b64 v[14:15], 3, v[40:41]
	v_add_co_u32 v12, vcc_lo, v0, v12
	v_add_co_ci_u32_e32 v13, vcc_lo, v1, v13, vcc_lo
	v_add_nc_u32_e32 v40, 0x16c, v36
	v_add_co_u32 v14, vcc_lo, v0, v14
	v_add_co_ci_u32_e32 v15, vcc_lo, v1, v15, vcc_lo
	v_lshlrev_b64 v[16:17], 3, v[40:41]
	v_add_nc_u32_e32 v40, 0x1a0, v36
	s_waitcnt lgkmcnt(0)
	global_store_dwordx2 v[10:11], v[2:3], off
	global_store_dwordx2 v[12:13], v[4:5], off
	global_store_dwordx2 v[14:15], v[6:7], off
	ds_read2_b64 v[2:5], v18 offset0:160 offset1:212
	v_add_nc_u32_e32 v18, 0x1400, v24
	v_lshlrev_b64 v[6:7], 3, v[40:41]
	v_add_nc_u32_e32 v40, 0x1d4, v36
	v_add_co_u32 v10, vcc_lo, v0, v16
	v_add_co_ci_u32_e32 v11, vcc_lo, v1, v17, vcc_lo
	v_lshlrev_b64 v[12:13], 3, v[40:41]
	v_add_co_u32 v6, vcc_lo, v0, v6
	v_add_co_ci_u32_e32 v7, vcc_lo, v1, v7, vcc_lo
	v_add_nc_u32_e32 v40, 0x208, v36
	v_add_co_u32 v12, vcc_lo, v0, v12
	v_add_nc_u32_e32 v16, 0x1000, v24
	v_add_co_ci_u32_e32 v13, vcc_lo, v1, v13, vcc_lo
	v_lshlrev_b64 v[14:15], 3, v[40:41]
	v_add_nc_u32_e32 v40, 0x23c, v36
	global_store_dwordx2 v[10:11], v[8:9], off
	s_waitcnt lgkmcnt(0)
	global_store_dwordx2 v[6:7], v[2:3], off
	global_store_dwordx2 v[12:13], v[4:5], off
	ds_read2_b64 v[2:5], v16 offset0:8 offset1:60
	ds_read2_b64 v[6:9], v16 offset0:112 offset1:164
	v_lshlrev_b64 v[10:11], 3, v[40:41]
	v_add_nc_u32_e32 v40, 0x270, v36
	v_add_co_u32 v12, vcc_lo, v0, v14
	v_add_co_ci_u32_e32 v13, vcc_lo, v1, v15, vcc_lo
	v_lshlrev_b64 v[14:15], 3, v[40:41]
	v_add_co_u32 v10, vcc_lo, v0, v10
	v_add_co_ci_u32_e32 v11, vcc_lo, v1, v11, vcc_lo
	v_add_nc_u32_e32 v40, 0x2a4, v36
	v_add_co_u32 v14, vcc_lo, v0, v14
	v_add_co_ci_u32_e32 v15, vcc_lo, v1, v15, vcc_lo
	v_lshlrev_b64 v[16:17], 3, v[40:41]
	v_add_nc_u32_e32 v40, 0x2d8, v36
	s_waitcnt lgkmcnt(1)
	global_store_dwordx2 v[12:13], v[2:3], off
	global_store_dwordx2 v[10:11], v[4:5], off
	s_waitcnt lgkmcnt(0)
	global_store_dwordx2 v[14:15], v[6:7], off
	ds_read2_b64 v[2:5], v18 offset0:88 offset1:140
	v_lshlrev_b64 v[6:7], 3, v[40:41]
	v_add_nc_u32_e32 v40, 0x30c, v36
	v_add_co_u32 v10, vcc_lo, v0, v16
	v_add_co_ci_u32_e32 v11, vcc_lo, v1, v17, vcc_lo
	v_lshlrev_b64 v[12:13], 3, v[40:41]
	v_add_nc_u32_e32 v40, 0x340, v36
	v_add_co_u32 v6, vcc_lo, v0, v6
	v_add_co_ci_u32_e32 v7, vcc_lo, v1, v7, vcc_lo
	v_add_co_u32 v12, vcc_lo, v0, v12
	v_lshlrev_b64 v[14:15], 3, v[40:41]
	v_add_nc_u32_e32 v40, 0x374, v36
	v_add_co_ci_u32_e32 v13, vcc_lo, v1, v13, vcc_lo
	v_add_nc_u32_e32 v16, 0x1800, v24
	global_store_dwordx2 v[10:11], v[8:9], off
	s_waitcnt lgkmcnt(0)
	global_store_dwordx2 v[6:7], v[2:3], off
	global_store_dwordx2 v[12:13], v[4:5], off
	v_lshlrev_b64 v[10:11], 3, v[40:41]
	v_add_nc_u32_e32 v40, 0x3a8, v36
	v_add_co_u32 v14, vcc_lo, v0, v14
	ds_read2_b64 v[2:5], v16 offset0:64 offset1:116
	ds_read2_b64 v[6:9], v16 offset0:168 offset1:220
	v_lshlrev_b64 v[12:13], 3, v[40:41]
	v_add_co_ci_u32_e32 v15, vcc_lo, v1, v15, vcc_lo
	v_add_nc_u32_e32 v40, 0x3dc, v36
	v_add_co_u32 v16, vcc_lo, v0, v10
	v_add_co_ci_u32_e32 v17, vcc_lo, v1, v11, vcc_lo
	v_add_co_u32 v20, vcc_lo, v0, v12
	v_lshlrev_b64 v[18:19], 3, v[40:41]
	v_add_co_ci_u32_e32 v21, vcc_lo, v1, v13, vcc_lo
	v_add_nc_u32_e32 v40, 0x410, v36
	ds_read2_b64 v[10:13], v25 offset0:16 offset1:68
	v_add_co_u32 v18, vcc_lo, v0, v18
	v_lshlrev_b64 v[22:23], 3, v[40:41]
	v_add_nc_u32_e32 v40, 0x444, v36
	v_add_co_ci_u32_e32 v19, vcc_lo, v1, v19, vcc_lo
	s_waitcnt lgkmcnt(2)
	global_store_dwordx2 v[14:15], v[2:3], off
	global_store_dwordx2 v[16:17], v[4:5], off
	s_waitcnt lgkmcnt(1)
	global_store_dwordx2 v[20:21], v[6:7], off
	global_store_dwordx2 v[18:19], v[8:9], off
	v_add_nc_u32_e32 v6, 0x2400, v24
	v_lshlrev_b64 v[2:3], 3, v[40:41]
	v_add_nc_u32_e32 v40, 0x478, v36
	v_add_co_u32 v4, vcc_lo, v0, v22
	v_add_co_ci_u32_e32 v5, vcc_lo, v1, v23, vcc_lo
	v_lshlrev_b64 v[14:15], 3, v[40:41]
	v_add_nc_u32_e32 v40, 0x4ac, v36
	v_add_co_u32 v2, vcc_lo, v0, v2
	v_add_co_ci_u32_e32 v3, vcc_lo, v1, v3, vcc_lo
	s_waitcnt lgkmcnt(0)
	global_store_dwordx2 v[4:5], v[10:11], off
	v_lshlrev_b64 v[10:11], 3, v[40:41]
	v_add_nc_u32_e32 v40, 0x4e0, v36
	global_store_dwordx2 v[2:3], v[12:13], off
	v_add_co_u32 v12, vcc_lo, v0, v14
	ds_read2_b64 v[2:5], v25 offset0:120 offset1:172
	v_add_co_ci_u32_e32 v13, vcc_lo, v1, v15, vcc_lo
	v_lshlrev_b64 v[14:15], 3, v[40:41]
	v_add_nc_u32_e32 v40, 0x514, v36
	ds_read2_b64 v[6:9], v6 offset0:96 offset1:148
	v_add_co_u32 v10, vcc_lo, v0, v10
	v_add_co_ci_u32_e32 v11, vcc_lo, v1, v11, vcc_lo
	v_lshlrev_b64 v[16:17], 3, v[40:41]
	v_add_co_u32 v14, vcc_lo, v0, v14
	v_add_co_ci_u32_e32 v15, vcc_lo, v1, v15, vcc_lo
	v_add_co_u32 v16, vcc_lo, v0, v16
	v_add_co_ci_u32_e32 v17, vcc_lo, v1, v17, vcc_lo
	v_cmp_eq_u32_e32 vcc_lo, 51, v36
	s_waitcnt lgkmcnt(1)
	global_store_dwordx2 v[12:13], v[2:3], off
	global_store_dwordx2 v[10:11], v[4:5], off
	s_waitcnt lgkmcnt(0)
	global_store_dwordx2 v[14:15], v[6:7], off
	global_store_dwordx2 v[16:17], v[8:9], off
	s_and_b32 exec_lo, exec_lo, vcc_lo
	s_cbranch_execz .LBB0_24
; %bb.23:
	v_mov_b32_e32 v2, 0
	v_add_co_u32 v0, vcc_lo, 0x2800, v0
	v_add_co_ci_u32_e32 v1, vcc_lo, 0, v1, vcc_lo
	ds_read_b64 v[2:3], v2 offset:10816
	s_waitcnt lgkmcnt(0)
	global_store_dwordx2 v[0:1], v[2:3], off offset:576
.LBB0_24:
	s_endpgm
	.section	.rodata,"a",@progbits
	.p2align	6, 0x0
	.amdhsa_kernel fft_rtc_fwd_len1352_factors_2_13_13_4_wgs_52_tpt_52_halfLds_sp_op_CI_CI_unitstride_sbrr_R2C_dirReg
		.amdhsa_group_segment_fixed_size 0
		.amdhsa_private_segment_fixed_size 0
		.amdhsa_kernarg_size 104
		.amdhsa_user_sgpr_count 6
		.amdhsa_user_sgpr_private_segment_buffer 1
		.amdhsa_user_sgpr_dispatch_ptr 0
		.amdhsa_user_sgpr_queue_ptr 0
		.amdhsa_user_sgpr_kernarg_segment_ptr 1
		.amdhsa_user_sgpr_dispatch_id 0
		.amdhsa_user_sgpr_flat_scratch_init 0
		.amdhsa_user_sgpr_private_segment_size 0
		.amdhsa_wavefront_size32 1
		.amdhsa_uses_dynamic_stack 0
		.amdhsa_system_sgpr_private_segment_wavefront_offset 0
		.amdhsa_system_sgpr_workgroup_id_x 1
		.amdhsa_system_sgpr_workgroup_id_y 0
		.amdhsa_system_sgpr_workgroup_id_z 0
		.amdhsa_system_sgpr_workgroup_info 0
		.amdhsa_system_vgpr_workitem_id 0
		.amdhsa_next_free_vgpr 158
		.amdhsa_next_free_sgpr 27
		.amdhsa_reserve_vcc 1
		.amdhsa_reserve_flat_scratch 0
		.amdhsa_float_round_mode_32 0
		.amdhsa_float_round_mode_16_64 0
		.amdhsa_float_denorm_mode_32 3
		.amdhsa_float_denorm_mode_16_64 3
		.amdhsa_dx10_clamp 1
		.amdhsa_ieee_mode 1
		.amdhsa_fp16_overflow 0
		.amdhsa_workgroup_processor_mode 1
		.amdhsa_memory_ordered 1
		.amdhsa_forward_progress 0
		.amdhsa_shared_vgpr_count 0
		.amdhsa_exception_fp_ieee_invalid_op 0
		.amdhsa_exception_fp_denorm_src 0
		.amdhsa_exception_fp_ieee_div_zero 0
		.amdhsa_exception_fp_ieee_overflow 0
		.amdhsa_exception_fp_ieee_underflow 0
		.amdhsa_exception_fp_ieee_inexact 0
		.amdhsa_exception_int_div_zero 0
	.end_amdhsa_kernel
	.text
.Lfunc_end0:
	.size	fft_rtc_fwd_len1352_factors_2_13_13_4_wgs_52_tpt_52_halfLds_sp_op_CI_CI_unitstride_sbrr_R2C_dirReg, .Lfunc_end0-fft_rtc_fwd_len1352_factors_2_13_13_4_wgs_52_tpt_52_halfLds_sp_op_CI_CI_unitstride_sbrr_R2C_dirReg
                                        ; -- End function
	.section	.AMDGPU.csdata,"",@progbits
; Kernel info:
; codeLenInByte = 21752
; NumSgprs: 29
; NumVgprs: 158
; ScratchSize: 0
; MemoryBound: 0
; FloatMode: 240
; IeeeMode: 1
; LDSByteSize: 0 bytes/workgroup (compile time only)
; SGPRBlocks: 3
; VGPRBlocks: 19
; NumSGPRsForWavesPerEU: 29
; NumVGPRsForWavesPerEU: 158
; Occupancy: 6
; WaveLimiterHint : 1
; COMPUTE_PGM_RSRC2:SCRATCH_EN: 0
; COMPUTE_PGM_RSRC2:USER_SGPR: 6
; COMPUTE_PGM_RSRC2:TRAP_HANDLER: 0
; COMPUTE_PGM_RSRC2:TGID_X_EN: 1
; COMPUTE_PGM_RSRC2:TGID_Y_EN: 0
; COMPUTE_PGM_RSRC2:TGID_Z_EN: 0
; COMPUTE_PGM_RSRC2:TIDIG_COMP_CNT: 0
	.text
	.p2alignl 6, 3214868480
	.fill 48, 4, 3214868480
	.type	__hip_cuid_9470cac75424c42d,@object ; @__hip_cuid_9470cac75424c42d
	.section	.bss,"aw",@nobits
	.globl	__hip_cuid_9470cac75424c42d
__hip_cuid_9470cac75424c42d:
	.byte	0                               ; 0x0
	.size	__hip_cuid_9470cac75424c42d, 1

	.ident	"AMD clang version 19.0.0git (https://github.com/RadeonOpenCompute/llvm-project roc-6.4.0 25133 c7fe45cf4b819c5991fe208aaa96edf142730f1d)"
	.section	".note.GNU-stack","",@progbits
	.addrsig
	.addrsig_sym __hip_cuid_9470cac75424c42d
	.amdgpu_metadata
---
amdhsa.kernels:
  - .args:
      - .actual_access:  read_only
        .address_space:  global
        .offset:         0
        .size:           8
        .value_kind:     global_buffer
      - .offset:         8
        .size:           8
        .value_kind:     by_value
      - .actual_access:  read_only
        .address_space:  global
        .offset:         16
        .size:           8
        .value_kind:     global_buffer
      - .actual_access:  read_only
        .address_space:  global
        .offset:         24
        .size:           8
        .value_kind:     global_buffer
      - .actual_access:  read_only
        .address_space:  global
        .offset:         32
        .size:           8
        .value_kind:     global_buffer
      - .offset:         40
        .size:           8
        .value_kind:     by_value
      - .actual_access:  read_only
        .address_space:  global
        .offset:         48
        .size:           8
        .value_kind:     global_buffer
      - .actual_access:  read_only
        .address_space:  global
        .offset:         56
        .size:           8
        .value_kind:     global_buffer
      - .offset:         64
        .size:           4
        .value_kind:     by_value
      - .actual_access:  read_only
        .address_space:  global
        .offset:         72
        .size:           8
        .value_kind:     global_buffer
      - .actual_access:  read_only
        .address_space:  global
        .offset:         80
        .size:           8
        .value_kind:     global_buffer
      - .actual_access:  read_only
        .address_space:  global
        .offset:         88
        .size:           8
        .value_kind:     global_buffer
      - .actual_access:  write_only
        .address_space:  global
        .offset:         96
        .size:           8
        .value_kind:     global_buffer
    .group_segment_fixed_size: 0
    .kernarg_segment_align: 8
    .kernarg_segment_size: 104
    .language:       OpenCL C
    .language_version:
      - 2
      - 0
    .max_flat_workgroup_size: 52
    .name:           fft_rtc_fwd_len1352_factors_2_13_13_4_wgs_52_tpt_52_halfLds_sp_op_CI_CI_unitstride_sbrr_R2C_dirReg
    .private_segment_fixed_size: 0
    .sgpr_count:     29
    .sgpr_spill_count: 0
    .symbol:         fft_rtc_fwd_len1352_factors_2_13_13_4_wgs_52_tpt_52_halfLds_sp_op_CI_CI_unitstride_sbrr_R2C_dirReg.kd
    .uniform_work_group_size: 1
    .uses_dynamic_stack: false
    .vgpr_count:     158
    .vgpr_spill_count: 0
    .wavefront_size: 32
    .workgroup_processor_mode: 1
amdhsa.target:   amdgcn-amd-amdhsa--gfx1030
amdhsa.version:
  - 1
  - 2
...

	.end_amdgpu_metadata
